;; amdgpu-corpus repo=ROCm/rocFFT kind=compiled arch=gfx906 opt=O3
	.text
	.amdgcn_target "amdgcn-amd-amdhsa--gfx906"
	.amdhsa_code_object_version 6
	.protected	bluestein_single_fwd_len1170_dim1_sp_op_CI_CI ; -- Begin function bluestein_single_fwd_len1170_dim1_sp_op_CI_CI
	.globl	bluestein_single_fwd_len1170_dim1_sp_op_CI_CI
	.p2align	8
	.type	bluestein_single_fwd_len1170_dim1_sp_op_CI_CI,@function
bluestein_single_fwd_len1170_dim1_sp_op_CI_CI: ; @bluestein_single_fwd_len1170_dim1_sp_op_CI_CI
; %bb.0:
	s_load_dwordx4 s[16:19], s[4:5], 0x28
	v_mul_u32_u24_e32 v1, 0x231, v0
	v_add_u32_sdwa v102, s6, v1 dst_sel:DWORD dst_unused:UNUSED_PAD src0_sel:DWORD src1_sel:WORD_1
	v_mov_b32_e32 v103, 0
	s_waitcnt lgkmcnt(0)
	v_cmp_gt_u64_e32 vcc, s[16:17], v[102:103]
	s_and_saveexec_b64 s[0:1], vcc
	s_cbranch_execz .LBB0_26
; %bb.1:
	s_load_dwordx4 s[0:3], s[4:5], 0x18
	s_load_dwordx4 s[12:15], s[4:5], 0x0
                                        ; implicit-def: $vgpr44
                                        ; implicit-def: $vgpr48
	s_waitcnt lgkmcnt(0)
	s_load_dwordx4 s[8:11], s[0:1], 0x0
	s_movk_i32 s0, 0x75
	v_mul_lo_u16_sdwa v1, v1, s0 dst_sel:DWORD dst_unused:UNUSED_PAD src0_sel:WORD_1 src1_sel:DWORD
	v_sub_u16_e32 v120, v0, v1
	v_lshlrev_b32_e32 v119, 3, v120
	s_waitcnt lgkmcnt(0)
	v_mad_u64_u32 v[0:1], s[6:7], s10, v102, 0
	v_mad_u64_u32 v[2:3], s[6:7], s8, v120, 0
	s_mul_i32 s1, s9, 0x1248
	v_lshlrev_b32_e32 v122, 4, v120
	v_mad_u64_u32 v[4:5], s[6:7], s11, v102, v[1:2]
	v_mad_u64_u32 v[5:6], s[6:7], s9, v120, v[3:4]
	v_mov_b32_e32 v1, v4
	v_lshlrev_b64 v[0:1], 3, v[0:1]
	v_mov_b32_e32 v6, s19
	v_mov_b32_e32 v3, v5
	v_add_co_u32_e32 v4, vcc, s18, v0
	v_addc_co_u32_e32 v5, vcc, v6, v1, vcc
	v_lshlrev_b64 v[0:1], 3, v[2:3]
	v_mov_b32_e32 v2, s13
	v_add_co_u32_e32 v0, vcc, v4, v0
	v_addc_co_u32_e32 v1, vcc, v5, v1, vcc
	v_add_co_u32_e32 v22, vcc, s12, v119
	s_mul_hi_u32 s6, s8, 0x1248
	v_addc_co_u32_e32 v23, vcc, 0, v2, vcc
	s_add_i32 s1, s6, s1
	s_mul_i32 s6, s8, 0x1248
	v_mov_b32_e32 v3, s1
	v_add_co_u32_e32 v2, vcc, s6, v0
	v_addc_co_u32_e32 v3, vcc, v1, v3, vcc
	s_movk_i32 s7, 0x1000
	global_load_dwordx2 v[4:5], v[0:1], off
	global_load_dwordx2 v[6:7], v[2:3], off
	v_add_co_u32_e32 v0, vcc, s7, v22
	s_mul_i32 s7, s9, 0xfffff160
	s_mul_hi_u32 s9, s8, 0xfffff160
	s_sub_i32 s9, s9, s8
	v_addc_co_u32_e32 v1, vcc, 0, v23, vcc
	s_add_i32 s7, s9, s7
	s_mulk_i32 s8, 0xf160
	v_mov_b32_e32 v8, s7
	v_add_co_u32_e32 v2, vcc, s8, v2
	v_addc_co_u32_e32 v3, vcc, v3, v8, vcc
	v_mov_b32_e32 v9, s1
	v_add_co_u32_e32 v8, vcc, s6, v2
	v_addc_co_u32_e32 v9, vcc, v3, v9, vcc
	v_mov_b32_e32 v11, s7
	v_add_co_u32_e32 v10, vcc, s8, v8
	v_addc_co_u32_e32 v11, vcc, v9, v11, vcc
	global_load_dwordx2 v[115:116], v119, s[12:13]
	global_load_dwordx2 v[111:112], v119, s[12:13] offset:936
	global_load_dwordx2 v[113:114], v[0:1], off offset:584
	global_load_dwordx2 v[109:110], v[0:1], off offset:1520
	global_load_dwordx2 v[12:13], v[2:3], off
	global_load_dwordx2 v[14:15], v[8:9], off
	global_load_dwordx2 v[16:17], v[10:11], off
	global_load_dwordx2 v[107:108], v119, s[12:13] offset:1872
	v_mov_b32_e32 v3, s1
	v_add_co_u32_e32 v2, vcc, s6, v10
	v_addc_co_u32_e32 v3, vcc, v11, v3, vcc
	global_load_dwordx2 v[8:9], v[2:3], off
	global_load_dwordx2 v[105:106], v[0:1], off offset:2456
	v_mov_b32_e32 v10, s7
	v_add_co_u32_e32 v2, vcc, s8, v2
	v_addc_co_u32_e32 v3, vcc, v3, v10, vcc
	global_load_dwordx2 v[10:11], v[2:3], off
	global_load_dwordx2 v[103:104], v119, s[12:13] offset:2808
	v_mov_b32_e32 v18, s1
	v_add_co_u32_e32 v2, vcc, s6, v2
	v_addc_co_u32_e32 v3, vcc, v3, v18, vcc
	global_load_dwordx2 v[18:19], v[2:3], off
	global_load_dwordx2 v[100:101], v[0:1], off offset:3392
	v_mov_b32_e32 v1, s7
	v_add_co_u32_e32 v0, vcc, s8, v2
	v_addc_co_u32_e32 v1, vcc, v3, v1, vcc
	global_load_dwordx2 v[2:3], v[0:1], off
	global_load_dwordx2 v[98:99], v119, s[12:13] offset:3744
	v_mov_b32_e32 v20, s1
	v_add_co_u32_e32 v0, vcc, s6, v0
	v_addc_co_u32_e32 v1, vcc, v1, v20, vcc
	s_movk_i32 s1, 0x2000
	global_load_dwordx2 v[20:21], v[0:1], off
	v_add_co_u32_e32 v0, vcc, s1, v22
	v_addc_co_u32_e32 v1, vcc, 0, v23, vcc
	global_load_dwordx2 v[96:97], v[0:1], off offset:232
	s_load_dwordx2 s[6:7], s[4:5], 0x38
	s_load_dwordx4 s[8:11], s[2:3], 0x0
	v_add_co_u32_e32 v64, vcc, s0, v120
	s_movk_i32 s0, 0xea
	v_add_co_u32_e32 v65, vcc, s0, v120
	s_movk_i32 s0, 0x15f
	v_add_co_u32_e32 v129, vcc, s0, v120
	v_addc_co_u32_e64 v130, s[0:1], 0, 0, vcc
	s_movk_i32 s0, 0x5a
	v_lshlrev_b32_e32 v124, 4, v64
	v_lshlrev_b32_e32 v125, 4, v65
	;; [unrolled: 1-line block ×3, first 2 shown]
	v_cmp_gt_u16_e64 s[0:1], s0, v120
	s_waitcnt vmcnt(17)
	v_mul_f32_e32 v0, v5, v116
	v_mul_f32_e32 v1, v4, v116
	v_fmac_f32_e32 v0, v4, v115
	v_fma_f32 v1, v5, v115, -v1
	s_waitcnt vmcnt(15)
	v_mul_f32_e32 v4, v7, v114
	v_mul_f32_e32 v5, v6, v114
	v_fmac_f32_e32 v4, v6, v113
	v_fma_f32 v5, v7, v113, -v5
	ds_write_b64 v119, v[4:5] offset:4680
	s_waitcnt vmcnt(13)
	v_mul_f32_e32 v4, v13, v112
	v_mul_f32_e32 v5, v12, v112
	v_fmac_f32_e32 v4, v12, v111
	v_fma_f32 v5, v13, v111, -v5
	ds_write2_b64 v119, v[0:1], v[4:5] offset1:117
	s_waitcnt vmcnt(12)
	v_mul_f32_e32 v0, v14, v110
	v_fma_f32 v5, v15, v109, -v0
	s_waitcnt vmcnt(10)
	v_mul_f32_e32 v0, v16, v108
	v_mul_f32_e32 v4, v15, v110
	v_fma_f32 v7, v17, v107, -v0
	s_waitcnt vmcnt(8)
	v_mul_f32_e32 v12, v9, v106
	v_mul_f32_e32 v0, v8, v106
	v_fmac_f32_e32 v4, v14, v109
	v_fmac_f32_e32 v12, v8, v105
	v_fma_f32 v13, v9, v105, -v0
	v_add_u32_e32 v0, 0x1400, v119
	v_mul_f32_e32 v6, v17, v108
	ds_write2_b64 v0, v[4:5], v[12:13] offset0:62 offset1:179
	s_waitcnt vmcnt(6)
	v_mul_f32_e32 v4, v11, v104
	v_mul_f32_e32 v1, v10, v104
	v_fmac_f32_e32 v6, v16, v107
	v_fmac_f32_e32 v4, v10, v103
	v_fma_f32 v5, v11, v103, -v1
	v_add_u32_e32 v1, 0x400, v119
	ds_write2_b64 v1, v[6:7], v[4:5] offset0:106 offset1:223
	s_waitcnt vmcnt(2)
	v_mul_f32_e32 v6, v3, v99
	v_fmac_f32_e32 v6, v2, v98
	v_mul_f32_e32 v2, v2, v99
	v_mul_f32_e32 v4, v19, v101
	;; [unrolled: 1-line block ×3, first 2 shown]
	v_fma_f32 v7, v3, v98, -v2
	s_waitcnt vmcnt(0)
	v_mul_f32_e32 v2, v21, v97
	v_mul_f32_e32 v3, v20, v97
	v_fmac_f32_e32 v4, v18, v100
	v_fma_f32 v5, v19, v100, -v5
	ds_write_b64 v119, v[6:7] offset:3744
	v_fmac_f32_e32 v2, v20, v96
	v_fma_f32 v3, v21, v96, -v3
	v_add_u32_e32 v18, 0x1c00, v119
	v_add_u32_e32 v6, 0xc00, v119
	ds_write2_b64 v18, v[4:5], v[2:3] offset0:40 offset1:157
	s_waitcnt lgkmcnt(0)
	s_barrier
	ds_read2_b64 v[2:5], v119 offset1:117
	ds_read2_b64 v[6:9], v6 offset0:84 offset1:201
	ds_read2_b64 v[10:13], v0 offset0:62 offset1:179
	;; [unrolled: 1-line block ×4, first 2 shown]
	s_waitcnt lgkmcnt(0)
	s_barrier
	v_sub_f32_e32 v30, v4, v10
	v_sub_f32_e32 v26, v2, v8
	;; [unrolled: 1-line block ×10, first 2 shown]
	v_fma_f32 v24, v2, 2.0, -v26
	v_fma_f32 v25, v3, 2.0, -v27
	;; [unrolled: 1-line block ×10, first 2 shown]
	ds_write_b128 v122, v[24:27]
	ds_write_b128 v124, v[28:31]
	;; [unrolled: 1-line block ×4, first 2 shown]
	ds_write_b128 v122, v[40:43] offset:7488
	s_waitcnt lgkmcnt(0)
	s_barrier
	s_and_saveexec_b64 s[2:3], s[0:1]
	s_cbranch_execz .LBB0_3
; %bb.2:
	ds_read2_b64 v[24:27], v119 offset1:90
	ds_read2_b64 v[28:31], v1 offset0:52 offset1:142
	v_add_u32_e32 v1, 0x800, v119
	ds_read2_b64 v[32:35], v1 offset0:104 offset1:194
	v_add_u32_e32 v1, 0x1000, v119
	ds_read2_b64 v[36:39], v1 offset0:28 offset1:118
	ds_read2_b64 v[40:43], v0 offset0:80 offset1:170
	v_add_u32_e32 v0, 0x1800, v119
	ds_read2_b64 v[44:47], v0 offset0:132 offset1:222
	ds_read_b64 v[48:49], v119 offset:8640
.LBB0_3:
	s_or_b64 exec, exec, s[2:3]
	v_and_b32_e32 v121, 1, v120
	v_mul_u32_u24_e32 v0, 12, v121
	v_lshlrev_b32_e32 v50, 3, v0
	global_load_dwordx4 v[16:19], v50, s[14:15]
	global_load_dwordx4 v[8:11], v50, s[14:15] offset:16
	global_load_dwordx4 v[4:7], v50, s[14:15] offset:32
	;; [unrolled: 1-line block ×5, first 2 shown]
	s_mov_b32 s4, 0x3f62ad3f
	s_mov_b32 s5, 0x3f116cb1
	;; [unrolled: 1-line block ×6, first 2 shown]
	s_waitcnt vmcnt(0) lgkmcnt(0)
	s_barrier
	v_mul_f32_e32 v56, v27, v17
	v_mul_f32_e32 v50, v26, v17
	;; [unrolled: 1-line block ×19, first 2 shown]
	v_fmac_f32_e32 v51, v29, v18
	v_fma_f32 v29, v30, v8, -v58
	v_fma_f32 v30, v32, v10, -v59
	;; [unrolled: 1-line block ×3, first 2 shown]
	v_fmac_f32_e32 v62, v39, v0
	v_fma_f32 v36, v42, v20, -v72
	v_fma_f32 v42, v26, v16, -v56
	v_fmac_f32_e32 v50, v27, v16
	v_fma_f32 v39, v48, v14, -v75
	v_fmac_f32_e32 v69, v49, v14
	v_mul_f32_e32 v54, v34, v5
	v_mul_f32_e32 v71, v41, v3
	;; [unrolled: 1-line block ×4, first 2 shown]
	v_fma_f32 v28, v28, v18, -v57
	v_fmac_f32_e32 v52, v31, v8
	v_fma_f32 v31, v34, v4, -v60
	v_fma_f32 v34, v38, v0, -v70
	;; [unrolled: 1-line block ×3, first 2 shown]
	v_fmac_f32_e32 v68, v47, v12
	v_sub_f32_e32 v81, v42, v39
	v_sub_f32_e32 v86, v50, v69
	v_mul_f32_e32 v63, v40, v3
	v_fmac_f32_e32 v54, v35, v4
	v_fmac_f32_e32 v55, v37, v6
	v_fma_f32 v35, v40, v2, -v71
	v_fma_f32 v37, v44, v22, -v73
	v_fmac_f32_e32 v67, v45, v22
	v_add_f32_e32 v40, v50, v69
	v_sub_f32_e32 v80, v28, v38
	v_sub_f32_e32 v85, v51, v68
	v_mul_f32_e32 v70, 0xbeedf032, v81
	v_mul_f32_e32 v47, 0xbeedf032, v86
	v_fmac_f32_e32 v53, v33, v10
	v_fmac_f32_e32 v63, v41, v2
	;; [unrolled: 1-line block ×3, first 2 shown]
	v_add_f32_e32 v41, v51, v68
	v_add_f32_e32 v33, v42, v39
	v_sub_f32_e32 v84, v52, v67
	v_sub_f32_e32 v82, v29, v37
	v_mul_f32_e32 v49, 0xbf52af12, v80
	v_mul_f32_e32 v46, 0xbf52af12, v85
	v_fma_f32 v44, v40, s4, -v70
	v_mov_b32_e32 v56, v47
	v_add_f32_e32 v27, v28, v38
	v_add_f32_e32 v43, v52, v67
	v_mul_f32_e32 v45, 0xbf7e222b, v84
	v_mul_f32_e32 v71, 0xbf7e222b, v82
	v_fma_f32 v48, v41, s5, -v49
	v_mov_b32_e32 v57, v46
	v_add_f32_e32 v44, v25, v44
	v_fmac_f32_e32 v56, 0x3f62ad3f, v33
	v_sub_f32_e32 v92, v53, v66
	v_add_f32_e32 v26, v29, v37
	v_mov_b32_e32 v58, v45
	v_fma_f32 v59, v43, s16, -v71
	v_fmac_f32_e32 v57, 0x3f116cb1, v27
	v_add_f32_e32 v44, v48, v44
	v_add_f32_e32 v48, v24, v56
	v_mul_f32_e32 v73, 0xbf6f5d39, v92
	v_fmac_f32_e32 v58, 0x3df6dbef, v26
	v_add_f32_e32 v48, v57, v48
	v_add_f32_e32 v56, v59, v44
	;; [unrolled: 1-line block ×3, first 2 shown]
	v_mov_b32_e32 v57, v73
	v_add_f32_e32 v48, v58, v48
	v_fmac_f32_e32 v57, 0xbeb58ec6, v44
	v_sub_f32_e32 v90, v30, v36
	v_add_f32_e32 v57, v57, v48
	v_add_f32_e32 v48, v53, v66
	v_mul_f32_e32 v76, 0xbf6f5d39, v90
	v_sub_f32_e32 v136, v54, v63
	v_fma_f32 v58, v48, s17, -v76
	v_mul_f32_e32 v77, 0xbf29c268, v136
	v_add_f32_e32 v56, v58, v56
	v_add_f32_e32 v72, v31, v35
	v_mov_b32_e32 v58, v77
	v_sub_f32_e32 v134, v31, v35
	v_fmac_f32_e32 v58, 0xbf3f9e67, v72
	v_add_f32_e32 v74, v54, v63
	v_mul_f32_e32 v79, 0xbf29c268, v134
	v_sub_f32_e32 v142, v55, v62
	v_add_f32_e32 v57, v58, v57
	v_fma_f32 v58, v74, s18, -v79
	v_mul_f32_e32 v83, 0xbe750f2a, v142
	v_add_f32_e32 v56, v58, v56
	v_add_f32_e32 v75, v32, v34
	v_mov_b32_e32 v58, v83
	v_sub_f32_e32 v139, v32, v34
	v_fmac_f32_e32 v58, 0xbf788fa5, v75
	v_add_f32_e32 v78, v55, v62
	v_mul_f32_e32 v87, 0xbe750f2a, v139
	v_add_f32_e32 v117, v58, v57
	v_fma_f32 v57, v78, s19, -v87
	v_mul_f32_e32 v88, 0xbf52af12, v86
	v_add_f32_e32 v118, v57, v56
	v_mov_b32_e32 v56, v88
	v_mul_f32_e32 v89, 0xbf6f5d39, v85
	v_fmac_f32_e32 v56, 0x3f116cb1, v33
	v_mov_b32_e32 v57, v89
	v_add_f32_e32 v56, v24, v56
	v_fmac_f32_e32 v57, 0xbeb58ec6, v27
	v_mul_f32_e32 v94, 0xbf52af12, v81
	v_add_f32_e32 v56, v57, v56
	v_fma_f32 v57, v40, s5, -v94
	v_mul_f32_e32 v127, 0xbf6f5d39, v80
	v_add_f32_e32 v57, v25, v57
	v_fma_f32 v58, v41, s17, -v127
	v_mul_f32_e32 v91, 0xbe750f2a, v84
	v_add_f32_e32 v57, v58, v57
	v_mov_b32_e32 v58, v91
	v_fmac_f32_e32 v58, 0xbf788fa5, v26
	v_mul_f32_e32 v131, 0xbe750f2a, v82
	v_add_f32_e32 v56, v58, v56
	v_fma_f32 v58, v43, s19, -v131
	v_mul_f32_e32 v93, 0x3f29c268, v92
	v_add_f32_e32 v57, v58, v57
	v_mov_b32_e32 v58, v93
	v_fmac_f32_e32 v58, 0xbf3f9e67, v44
	v_mul_f32_e32 v132, 0x3f29c268, v90
	v_add_f32_e32 v56, v58, v56
	v_fma_f32 v58, v48, s18, -v132
	v_mul_f32_e32 v95, 0x3f7e222b, v136
	v_add_f32_e32 v57, v58, v57
	v_mov_b32_e32 v58, v95
	v_fmac_f32_e32 v58, 0x3df6dbef, v72
	v_mul_f32_e32 v133, 0x3f7e222b, v134
	v_add_f32_e32 v56, v58, v56
	v_fma_f32 v58, v74, s16, -v133
	v_mul_f32_e32 v128, 0x3eedf032, v142
	v_add_f32_e32 v57, v58, v57
	v_mov_b32_e32 v58, v128
	v_fmac_f32_e32 v58, 0x3f62ad3f, v75
	v_mul_f32_e32 v135, 0x3eedf032, v139
	v_add_f32_e32 v58, v58, v56
	v_fma_f32 v56, v78, s4, -v135
	v_mul_f32_e32 v137, 0xbf7e222b, v86
	v_add_f32_e32 v59, v56, v57
	v_mov_b32_e32 v56, v137
	v_mul_f32_e32 v138, 0xbe750f2a, v85
	v_fmac_f32_e32 v56, 0x3df6dbef, v33
	v_mov_b32_e32 v57, v138
	v_add_f32_e32 v56, v24, v56
	v_fmac_f32_e32 v57, 0xbf788fa5, v27
	v_mul_f32_e32 v143, 0xbf7e222b, v81
	v_add_f32_e32 v56, v57, v56
	v_fma_f32 v57, v40, s16, -v143
	v_mul_f32_e32 v145, 0xbe750f2a, v80
	v_add_f32_e32 v57, v25, v57
	v_fma_f32 v60, v41, s19, -v145
	v_mul_f32_e32 v140, 0x3f6f5d39, v84
	v_add_f32_e32 v57, v60, v57
	v_mov_b32_e32 v60, v140
	v_fmac_f32_e32 v60, 0xbeb58ec6, v26
	v_mul_f32_e32 v147, 0x3f6f5d39, v82
	v_add_f32_e32 v56, v60, v56
	v_fma_f32 v60, v43, s17, -v147
	v_mul_f32_e32 v141, 0x3eedf032, v92
	v_add_f32_e32 v57, v60, v57
	v_mov_b32_e32 v60, v141
	v_fmac_f32_e32 v60, 0x3f62ad3f, v44
	v_mul_f32_e32 v148, 0x3eedf032, v90
	v_add_f32_e32 v56, v60, v56
	v_fma_f32 v60, v48, s4, -v148
	v_mul_f32_e32 v144, 0xbf52af12, v136
	v_add_f32_e32 v57, v60, v57
	v_mov_b32_e32 v60, v144
	v_fmac_f32_e32 v60, 0x3f116cb1, v72
	v_mul_f32_e32 v149, 0xbf52af12, v134
	v_add_f32_e32 v56, v60, v56
	v_fma_f32 v60, v74, s5, -v149
	v_mul_f32_e32 v146, 0xbf29c268, v142
	v_add_f32_e32 v57, v60, v57
	v_mov_b32_e32 v60, v146
	v_fmac_f32_e32 v60, 0xbf3f9e67, v75
	v_mul_f32_e32 v150, 0xbf29c268, v139
	v_add_f32_e32 v60, v60, v56
	v_fma_f32 v56, v78, s18, -v150
	v_mul_f32_e32 v151, 0xbf6f5d39, v86
	v_add_f32_e32 v61, v56, v57
	v_mov_b32_e32 v56, v151
	v_mul_f32_e32 v152, 0x3f29c268, v85
	v_fmac_f32_e32 v56, 0xbeb58ec6, v33
	v_mov_b32_e32 v57, v152
	v_add_f32_e32 v56, v24, v56
	v_fmac_f32_e32 v57, 0xbf3f9e67, v27
	v_mul_f32_e32 v155, 0xbf6f5d39, v81
	v_add_f32_e32 v56, v57, v56
	v_fma_f32 v57, v40, s17, -v155
	v_mul_f32_e32 v157, 0x3f29c268, v80
	v_add_f32_e32 v57, v25, v57
	v_fma_f32 v123, v41, s18, -v157
	v_mul_f32_e32 v153, 0x3eedf032, v84
	v_add_f32_e32 v57, v123, v57
	v_mov_b32_e32 v123, v153
	v_fmac_f32_e32 v123, 0x3f62ad3f, v26
	v_mul_f32_e32 v159, 0x3eedf032, v82
	v_add_f32_e32 v56, v123, v56
	v_fma_f32 v123, v43, s4, -v159
	v_mul_f32_e32 v154, 0xbf7e222b, v92
	v_add_f32_e32 v57, v123, v57
	v_mov_b32_e32 v123, v154
	v_fmac_f32_e32 v123, 0x3df6dbef, v44
	v_mul_f32_e32 v160, 0xbf7e222b, v90
	v_add_f32_e32 v56, v123, v56
	v_fma_f32 v123, v48, s16, -v160
	v_mul_f32_e32 v156, 0x3e750f2a, v136
	v_add_f32_e32 v57, v123, v57
	v_mov_b32_e32 v123, v156
	v_fmac_f32_e32 v123, 0xbf788fa5, v72
	v_mul_f32_e32 v161, 0x3e750f2a, v134
	v_add_f32_e32 v56, v123, v56
	v_fma_f32 v123, v74, s19, -v161
	v_mul_f32_e32 v158, 0x3f52af12, v142
	v_add_f32_e32 v57, v123, v57
	v_mov_b32_e32 v123, v158
	v_fmac_f32_e32 v123, 0x3f116cb1, v75
	v_mul_f32_e32 v162, 0x3f52af12, v139
	v_add_f32_e32 v56, v123, v56
	v_fma_f32 v123, v78, s5, -v162
	v_add_f32_e32 v57, v123, v57
	v_lshrrev_b32_e32 v123, 1, v120
	s_and_saveexec_b64 s[2:3], s[0:1]
	s_cbranch_execz .LBB0_5
; %bb.4:
	v_mul_f32_e32 v215, 0xbf3f9e67, v40
	v_mov_b32_e32 v163, v215
	v_mul_f32_e32 v216, 0x3df6dbef, v41
	v_fmac_f32_e32 v163, 0x3f29c268, v81
	v_mov_b32_e32 v164, v216
	v_add_f32_e32 v163, v25, v163
	v_fmac_f32_e32 v164, 0xbf7e222b, v80
	v_mul_f32_e32 v217, 0x3f116cb1, v43
	v_add_f32_e32 v163, v164, v163
	v_mov_b32_e32 v164, v217
	v_fmac_f32_e32 v164, 0x3f52af12, v82
	v_mul_f32_e32 v218, 0xbf788fa5, v48
	v_add_f32_e32 v163, v164, v163
	v_mov_b32_e32 v164, v218
	;; [unrolled: 4-line block ×5, first 2 shown]
	v_mul_f32_e32 v222, 0x3f7e222b, v85
	v_fmac_f32_e32 v163, 0xbf3f9e67, v33
	v_mov_b32_e32 v165, v222
	v_add_f32_e32 v163, v24, v163
	v_fmac_f32_e32 v165, 0x3df6dbef, v27
	v_mul_f32_e32 v223, 0xbf52af12, v84
	v_add_f32_e32 v163, v165, v163
	v_mov_b32_e32 v165, v223
	v_fmac_f32_e32 v165, 0x3f116cb1, v26
	v_mul_f32_e32 v224, 0x3e750f2a, v92
	v_add_f32_e32 v163, v165, v163
	v_mov_b32_e32 v165, v224
	;; [unrolled: 4-line block ×5, first 2 shown]
	v_mul_f32_e32 v228, 0x3eedf032, v80
	v_fmac_f32_e32 v165, 0xbf788fa5, v40
	v_mov_b32_e32 v166, v228
	v_add_f32_e32 v165, v25, v165
	v_fmac_f32_e32 v166, 0x3f62ad3f, v41
	v_mul_f32_e32 v229, 0xbf29c268, v82
	v_add_f32_e32 v165, v166, v165
	v_mov_b32_e32 v166, v229
	v_fmac_f32_e32 v166, 0xbf3f9e67, v43
	v_mul_f32_e32 v230, 0x3f52af12, v90
	v_fmac_f32_e32 v215, 0xbf29c268, v81
	v_add_f32_e32 v165, v166, v165
	v_mov_b32_e32 v166, v230
	v_add_f32_e32 v81, v25, v215
	v_fmac_f32_e32 v216, 0x3f7e222b, v80
	v_fmac_f32_e32 v166, 0x3f116cb1, v48
	v_mul_f32_e32 v231, 0xbf6f5d39, v134
	v_add_f32_e32 v80, v216, v81
	v_fmac_f32_e32 v217, 0xbf52af12, v82
	v_add_f32_e32 v165, v166, v165
	v_mov_b32_e32 v166, v231
	v_add_f32_e32 v80, v217, v80
	v_fmac_f32_e32 v218, 0x3e750f2a, v90
	v_fmac_f32_e32 v166, 0xbeb58ec6, v74
	v_mul_f32_e32 v232, 0x3f7e222b, v139
	v_add_f32_e32 v80, v218, v80
	;; [unrolled: 8-line block ×3, first 2 shown]
	v_fma_f32 v80, v33, s18, -v221
	v_add_f32_e32 v166, v166, v165
	v_fma_f32 v165, v33, s19, -v86
	v_mul_f32_e32 v233, 0x3eedf032, v85
	v_add_f32_e32 v80, v24, v80
	v_fma_f32 v82, v27, s16, -v222
	v_add_f32_e32 v165, v24, v165
	v_fma_f32 v85, v27, s4, -v233
	v_mul_f32_e32 v234, 0xbf29c268, v84
	v_add_f32_e32 v80, v82, v80
	;; [unrolled: 5-line block ×4, first 2 shown]
	v_fma_f32 v82, v72, s4, -v225
	v_mul_f32_e32 v174, 0xbeb58ec6, v40
	v_add_f32_e32 v84, v85, v84
	v_fma_f32 v85, v72, s17, -v136
	v_mul_f32_e32 v142, 0x3f7e222b, v142
	v_add_f32_e32 v80, v82, v80
	v_fma_f32 v82, v75, s17, -v226
	v_mul_f32_e32 v182, 0xbf3f9e67, v41
	v_add_f32_e32 v84, v85, v84
	v_fma_f32 v85, v75, s16, -v142
	v_add_f32_e32 v80, v82, v80
	v_add_f32_e32 v82, v155, v174
	v_mul_f32_e32 v190, 0x3f62ad3f, v43
	v_add_f32_e32 v165, v85, v84
	v_add_f32_e32 v82, v25, v82
	v_add_f32_e32 v84, v157, v182
	v_mul_f32_e32 v198, 0x3df6dbef, v48
	v_add_f32_e32 v82, v84, v82
	v_add_f32_e32 v84, v159, v190
	v_mul_f32_e32 v206, 0xbf788fa5, v74
	v_add_f32_e32 v82, v84, v82
	v_add_f32_e32 v84, v160, v198
	;; [unrolled: 3-line block ×4, first 2 shown]
	v_mul_f32_e32 v181, 0xbf3f9e67, v27
	v_add_f32_e32 v85, v84, v82
	v_sub_f32_e32 v82, v173, v151
	v_mul_f32_e32 v189, 0x3f62ad3f, v26
	v_add_f32_e32 v82, v24, v82
	v_sub_f32_e32 v84, v181, v152
	;; [unrolled: 3-line block ×6, first 2 shown]
	v_mul_f32_e32 v167, 0x3f62ad3f, v33
	v_mul_f32_e32 v168, 0x3f62ad3f, v40
	;; [unrolled: 1-line block ×3, first 2 shown]
	v_add_f32_e32 v84, v84, v82
	v_add_f32_e32 v82, v143, v172
	v_mul_f32_e32 v175, 0x3f116cb1, v27
	v_mul_f32_e32 v176, 0x3f116cb1, v41
	;; [unrolled: 1-line block ×3, first 2 shown]
	v_add_f32_e32 v82, v25, v82
	v_add_f32_e32 v90, v145, v180
	v_add_f32_e32 v70, v70, v168
	v_sub_f32_e32 v47, v167, v47
	v_mul_f32_e32 v183, 0x3df6dbef, v26
	v_mul_f32_e32 v184, 0x3df6dbef, v43
	v_mul_f32_e32 v196, 0x3f62ad3f, v48
	v_add_f32_e32 v82, v90, v82
	v_add_f32_e32 v90, v147, v188
	v_add_f32_e32 v70, v25, v70
	v_add_f32_e32 v49, v49, v176
	v_add_f32_e32 v47, v24, v47
	v_sub_f32_e32 v46, v175, v46
	v_mul_f32_e32 v191, 0xbeb58ec6, v44
	v_mul_f32_e32 v192, 0xbeb58ec6, v48
	v_mul_f32_e32 v204, 0x3f116cb1, v74
	v_add_f32_e32 v82, v90, v82
	v_add_f32_e32 v90, v148, v196
	v_add_f32_e32 v49, v49, v70
	v_add_f32_e32 v70, v71, v184
	v_add_f32_e32 v46, v46, v47
	v_sub_f32_e32 v45, v183, v45
	v_mul_f32_e32 v199, 0xbf3f9e67, v72
	v_mul_f32_e32 v200, 0xbf3f9e67, v74
	v_mul_f32_e32 v212, 0xbf3f9e67, v78
	v_add_f32_e32 v82, v90, v82
	v_add_f32_e32 v90, v149, v204
	v_add_f32_e32 v49, v70, v49
	v_add_f32_e32 v70, v76, v192
	v_add_f32_e32 v45, v45, v46
	v_sub_f32_e32 v46, v191, v73
	v_mul_f32_e32 v171, 0x3df6dbef, v33
	v_mul_f32_e32 v207, 0xbf788fa5, v75
	v_mul_f32_e32 v208, 0xbf788fa5, v78
	v_add_f32_e32 v82, v90, v82
	v_add_f32_e32 v90, v150, v212
	v_add_f32_e32 v49, v70, v49
	v_add_f32_e32 v70, v79, v200
	;; [unrolled: 1-line block ×3, first 2 shown]
	v_sub_f32_e32 v46, v199, v77
	v_mul_f32_e32 v179, 0xbf788fa5, v27
	v_add_f32_e32 v139, v90, v82
	v_sub_f32_e32 v82, v171, v137
	v_add_f32_e32 v49, v70, v49
	v_add_f32_e32 v70, v87, v208
	;; [unrolled: 1-line block ×3, first 2 shown]
	v_sub_f32_e32 v46, v207, v83
	v_mul_f32_e32 v187, 0xbeb58ec6, v26
	v_add_f32_e32 v82, v24, v82
	v_sub_f32_e32 v90, v179, v138
	v_add_f32_e32 v71, v70, v49
	v_add_f32_e32 v70, v46, v45
	;; [unrolled: 1-line block ×4, first 2 shown]
	v_mul_f32_e32 v195, 0x3f62ad3f, v44
	v_add_f32_e32 v82, v90, v82
	v_sub_f32_e32 v90, v187, v140
	v_add_f32_e32 v45, v45, v51
	v_add_f32_e32 v28, v42, v28
	v_mul_f32_e32 v203, 0x3f116cb1, v72
	v_add_f32_e32 v82, v90, v82
	v_sub_f32_e32 v90, v195, v141
	v_add_f32_e32 v45, v45, v52
	v_add_f32_e32 v28, v28, v29
	;; [unrolled: 5-line block ×4, first 2 shown]
	v_mul_f32_e32 v178, 0xbeb58ec6, v41
	v_add_f32_e32 v138, v90, v82
	v_add_f32_e32 v82, v94, v170
	v_add_f32_e32 v45, v45, v55
	v_add_f32_e32 v28, v28, v32
	v_mul_f32_e32 v186, 0xbf788fa5, v43
	v_add_f32_e32 v82, v25, v82
	v_add_f32_e32 v90, v127, v178
	v_add_f32_e32 v45, v45, v62
	v_add_f32_e32 v28, v28, v34
	;; [unrolled: 5-line block ×6, first 2 shown]
	v_mul_f32_e32 v177, 0xbeb58ec6, v27
	v_add_f32_e32 v90, v90, v82
	v_sub_f32_e32 v82, v169, v88
	v_add_f32_e32 v46, v45, v69
	v_add_f32_e32 v45, v28, v39
	v_fma_f32 v28, v40, s19, -v227
	v_fmac_f32_e32 v86, 0xbf788fa5, v33
	v_mul_f32_e32 v185, 0xbf788fa5, v26
	v_add_f32_e32 v82, v24, v82
	v_sub_f32_e32 v88, v177, v89
	v_add_f32_e32 v25, v25, v28
	v_fma_f32 v28, v41, s4, -v228
	v_add_f32_e32 v24, v24, v86
	v_fmac_f32_e32 v233, 0x3f62ad3f, v27
	v_mul_f32_e32 v193, 0xbf3f9e67, v44
	v_add_f32_e32 v82, v88, v82
	v_sub_f32_e32 v88, v185, v91
	v_add_f32_e32 v25, v28, v25
	v_fma_f32 v28, v43, s18, -v229
	v_add_f32_e32 v24, v233, v24
	;; [unrolled: 7-line block ×3, first 2 shown]
	v_fmac_f32_e32 v92, 0x3f116cb1, v44
	v_mul_u32_u24_e32 v26, 26, v123
	v_mul_f32_e32 v209, 0x3f62ad3f, v75
	v_add_f32_e32 v82, v88, v82
	v_sub_f32_e32 v88, v201, v95
	v_add_f32_e32 v25, v28, v25
	v_fma_f32 v28, v74, s17, -v231
	v_add_f32_e32 v24, v92, v24
	v_fmac_f32_e32 v136, 0xbeb58ec6, v72
	v_or_b32_e32 v26, v26, v121
	v_add_f32_e32 v82, v88, v82
	v_sub_f32_e32 v88, v209, v128
	v_add_f32_e32 v25, v28, v25
	v_fma_f32 v28, v78, s16, -v232
	v_add_f32_e32 v24, v136, v24
	v_fmac_f32_e32 v142, 0x3df6dbef, v75
	v_lshlrev_b32_e32 v26, 3, v26
	v_add_f32_e32 v89, v88, v82
	v_add_f32_e32 v25, v28, v25
	;; [unrolled: 1-line block ×3, first 2 shown]
	ds_write2_b64 v26, v[45:46], v[70:71] offset1:2
	ds_write2_b64 v26, v[89:90], v[138:139] offset0:4 offset1:6
	ds_write2_b64 v26, v[84:85], v[80:81] offset0:8 offset1:10
	;; [unrolled: 1-line block ×5, first 2 shown]
	ds_write_b64 v26, v[117:118] offset:192
.LBB0_5:
	s_or_b64 exec, exec, s[2:3]
	v_add_u32_e32 v24, 0x600, v119
	s_waitcnt lgkmcnt(0)
	s_barrier
	ds_read2_b64 v[40:43], v24 offset0:42 offset1:198
	v_add_u32_e32 v24, 0x1800, v119
	ds_read2_b64 v[48:51], v24 offset0:12 offset1:129
	v_add_u32_e32 v24, 0xc00, v119
	ds_read2_b64 v[44:47], v119 offset1:117
	ds_read2_b64 v[52:55], v24 offset0:123 offset1:240
	ds_read_b64 v[62:63], v119 offset:8112
	v_cmp_gt_u16_e64 s[2:3], 39, v120
	s_and_saveexec_b64 s[4:5], s[2:3]
	s_cbranch_execz .LBB0_7
; %bb.6:
	ds_read_b64 v[56:57], v119 offset:2808
	ds_read_b64 v[60:61], v119 offset:5928
	;; [unrolled: 1-line block ×3, first 2 shown]
.LBB0_7:
	s_or_b64 exec, exec, s[4:5]
	s_movk_i32 s4, 0x4f
	v_mul_lo_u16_sdwa v24, v120, s4 dst_sel:DWORD dst_unused:UNUSED_PAD src0_sel:BYTE_0 src1_sel:DWORD
	v_lshrrev_b16_e32 v69, 11, v24
	v_mul_lo_u16_e32 v24, 26, v69
	v_sub_u16_e32 v24, v120, v24
	v_and_b32_e32 v70, 0xff, v24
	v_mul_lo_u16_sdwa v24, v64, s4 dst_sel:DWORD dst_unused:UNUSED_PAD src0_sel:BYTE_0 src1_sel:DWORD
	v_lshrrev_b16_e32 v71, 11, v24
	v_mul_lo_u16_e32 v24, 26, v71
	v_sub_u16_e32 v24, v64, v24
	v_lshlrev_b32_e32 v32, 4, v70
	v_and_b32_e32 v72, 0xff, v24
	s_movk_i32 s4, 0x4ec5
	v_lshlrev_b32_e32 v33, 4, v72
	global_load_dwordx4 v[28:31], v32, s[14:15] offset:192
	global_load_dwordx4 v[24:27], v33, s[14:15] offset:192
	v_mul_u32_u24_sdwa v32, v65, s4 dst_sel:DWORD dst_unused:UNUSED_PAD src0_sel:WORD_0 src1_sel:DWORD
	v_lshrrev_b32_e32 v73, 19, v32
	v_mul_lo_u16_e32 v32, 26, v73
	v_mul_u32_u24_sdwa v36, v129, s4 dst_sel:DWORD dst_unused:UNUSED_PAD src0_sel:WORD_0 src1_sel:DWORD
	v_sub_u16_e32 v74, v65, v32
	v_lshrrev_b32_e32 v127, 19, v36
	v_lshlrev_b16_e32 v32, 4, v74
	v_mul_lo_u16_e32 v36, 26, v127
	v_mov_b32_e32 v37, s15
	v_add_co_u32_e32 v32, vcc, s14, v32
	v_sub_u16_e32 v128, v129, v36
	v_addc_co_u32_e32 v33, vcc, 0, v37, vcc
	v_lshlrev_b16_e32 v36, 4, v128
	v_add_co_u32_e32 v36, vcc, s14, v36
	v_addc_co_u32_e32 v37, vcc, 0, v37, vcc
	global_load_dwordx4 v[32:35], v[32:33], off offset:192
	s_movk_i32 s16, 0x4e
	global_load_dwordx4 v[36:39], v[36:37], off offset:192
	s_waitcnt vmcnt(0) lgkmcnt(0)
	s_barrier
	v_lshlrev_b32_e32 v66, 1, v120
	v_lshlrev_b32_e32 v65, 1, v64
	v_mul_f32_e32 v76, v42, v29
	v_mul_f32_e32 v78, v48, v31
	;; [unrolled: 1-line block ×5, first 2 shown]
	v_fmac_f32_e32 v76, v43, v28
	v_fmac_f32_e32 v78, v49, v30
	v_mul_f32_e32 v79, v53, v25
	v_mul_f32_e32 v81, v51, v27
	v_fma_f32 v75, v42, v28, -v75
	v_fma_f32 v48, v48, v30, -v77
	v_fmac_f32_e32 v80, v53, v24
	v_add_f32_e32 v53, v76, v78
	v_mul_f32_e32 v82, v50, v27
	v_fma_f32 v77, v52, v24, -v79
	v_fma_f32 v79, v50, v26, -v81
	v_add_f32_e32 v50, v75, v48
	v_add_f32_e32 v52, v45, v76
	v_fma_f32 v45, -0.5, v53, v45
	v_fmac_f32_e32 v82, v51, v26
	v_add_f32_e32 v49, v44, v75
	v_mul_f32_e32 v84, v54, v33
	v_mul_f32_e32 v83, v55, v33
	;; [unrolled: 1-line block ×4, first 2 shown]
	v_fmac_f32_e32 v84, v55, v32
	v_fma_f32 v43, v58, v38, -v88
	v_sub_f32_e32 v55, v75, v48
	v_add_f32_e32 v58, v77, v79
	v_fma_f32 v44, -0.5, v50, v44
	v_mov_b32_e32 v53, v45
	v_mul_f32_e32 v85, v63, v35
	v_fma_f32 v81, v54, v32, -v83
	v_sub_f32_e32 v51, v76, v78
	v_add_f32_e32 v54, v46, v77
	v_add_f32_e32 v48, v49, v48
	;; [unrolled: 1-line block ×3, first 2 shown]
	v_fma_f32 v46, -0.5, v58, v46
	v_mov_b32_e32 v52, v44
	v_fmac_f32_e32 v45, 0x3f5db3d7, v55
	v_fmac_f32_e32 v53, 0xbf5db3d7, v55
	v_add_f32_e32 v55, v80, v82
	v_mul_f32_e32 v86, v62, v35
	v_fma_f32 v62, v62, v34, -v85
	v_fmac_f32_e32 v68, v59, v38
	v_sub_f32_e32 v59, v80, v82
	v_add_f32_e32 v50, v54, v79
	v_fmac_f32_e32 v44, 0xbf5db3d7, v51
	v_mov_b32_e32 v54, v46
	v_fmac_f32_e32 v52, 0x3f5db3d7, v51
	v_add_f32_e32 v51, v47, v80
	v_fmac_f32_e32 v47, -0.5, v55
	v_fmac_f32_e32 v54, 0x3f5db3d7, v59
	v_fmac_f32_e32 v46, 0xbf5db3d7, v59
	v_sub_f32_e32 v58, v77, v79
	v_mov_b32_e32 v55, v47
	v_add_f32_e32 v59, v81, v62
	v_mul_f32_e32 v87, v61, v37
	v_mul_f32_e32 v67, v60, v37
	v_fmac_f32_e32 v86, v63, v34
	v_fmac_f32_e32 v55, 0xbf5db3d7, v58
	;; [unrolled: 1-line block ×3, first 2 shown]
	v_add_f32_e32 v58, v40, v81
	v_fma_f32 v40, -0.5, v59, v40
	v_fma_f32 v42, v60, v36, -v87
	v_fmac_f32_e32 v67, v61, v36
	v_sub_f32_e32 v59, v84, v86
	v_mov_b32_e32 v60, v40
	v_add_f32_e32 v61, v84, v86
	v_fmac_f32_e32 v60, 0x3f5db3d7, v59
	v_fmac_f32_e32 v40, 0xbf5db3d7, v59
	v_add_f32_e32 v59, v41, v84
	v_fmac_f32_e32 v41, -0.5, v61
	v_add_f32_e32 v58, v58, v62
	v_sub_f32_e32 v62, v81, v62
	v_mov_b32_e32 v61, v41
	v_fmac_f32_e32 v61, 0xbf5db3d7, v62
	v_fmac_f32_e32 v41, 0x3f5db3d7, v62
	v_add_f32_e32 v62, v42, v43
	v_fma_f32 v76, -0.5, v62, v56
	v_sub_f32_e32 v62, v67, v68
	v_mov_b32_e32 v90, v76
	v_fmac_f32_e32 v90, 0x3f5db3d7, v62
	v_fmac_f32_e32 v76, 0xbf5db3d7, v62
	v_add_f32_e32 v62, v67, v68
	v_fma_f32 v77, -0.5, v62, v57
	v_sub_f32_e32 v62, v42, v43
	v_mov_b32_e32 v91, v77
	v_fmac_f32_e32 v91, 0xbf5db3d7, v62
	v_fmac_f32_e32 v77, 0x3f5db3d7, v62
	v_mul_u32_u24_e32 v62, 0x4e, v69
	v_add_lshl_u32 v131, v62, v70, 3
	ds_write2_b64 v131, v[48:49], v[52:53] offset1:26
	ds_write_b64 v131, v[44:45] offset:416
	v_mul_u32_u24_e32 v44, 0x4e, v71
	v_add_lshl_u32 v132, v44, v72, 3
	v_mad_legacy_u16 v44, v73, s16, v74
	v_add_f32_e32 v51, v51, v82
	v_add_f32_e32 v59, v59, v86
	v_lshlrev_b32_e32 v133, 3, v44
	ds_write2_b64 v132, v[50:51], v[54:55] offset1:26
	ds_write_b64 v132, v[46:47] offset:416
	ds_write2_b64 v133, v[58:59], v[60:61] offset1:26
	ds_write_b64 v133, v[40:41] offset:416
	s_and_saveexec_b64 s[4:5], s[2:3]
	s_cbranch_execz .LBB0_9
; %bb.8:
	v_add_f32_e32 v40, v57, v67
	v_add_f32_e32 v41, v40, v68
	;; [unrolled: 1-line block ×3, first 2 shown]
	v_mad_legacy_u16 v42, v127, s16, v128
	v_add_f32_e32 v40, v40, v43
	v_lshlrev_b32_e32 v42, 3, v42
	ds_write2_b64 v42, v[40:41], v[90:91] offset1:26
	ds_write_b64 v42, v[76:77] offset:416
.LBB0_9:
	s_or_b64 exec, exec, s[4:5]
	s_movk_i32 s4, 0xffb2
	v_add_co_u32_e32 v40, vcc, s4, v120
	v_addc_co_u32_e64 v41, s[4:5], 0, -1, vcc
	v_cmp_gt_u16_e32 vcc, s16, v120
	v_cndmask_b32_e64 v83, v41, 0, vcc
	v_cndmask_b32_e32 v82, v40, v120, vcc
	v_lshlrev_b64 v[40:41], 5, v[82:83]
	v_mov_b32_e32 v42, s15
	v_add_co_u32_e32 v48, vcc, s14, v40
	v_addc_co_u32_e32 v49, vcc, v42, v41, vcc
	s_waitcnt lgkmcnt(0)
	s_barrier
	global_load_dwordx4 v[44:47], v[48:49], off offset:608
	global_load_dwordx4 v[40:43], v[48:49], off offset:624
	v_lshrrev_b16_e32 v48, 1, v64
	v_and_b32_e32 v48, 0x7f, v48
	v_mul_lo_u16_e32 v48, 0xd3, v48
	v_lshrrev_b16_e32 v75, 13, v48
	v_mul_lo_u16_e32 v48, 0x4e, v75
	v_sub_u16_e32 v48, v64, v48
	v_and_b32_e32 v64, 0xff, v48
	v_lshlrev_b32_e32 v52, 5, v64
	global_load_dwordx4 v[56:59], v52, s[14:15] offset:608
	global_load_dwordx4 v[48:51], v52, s[14:15] offset:624
	v_add_u32_e32 v60, 0x400, v119
	v_add_u32_e32 v136, 0xc00, v119
	;; [unrolled: 1-line block ×4, first 2 shown]
	ds_read2_b64 v[52:55], v119 offset1:117
	ds_read2_b64 v[60:63], v60 offset0:106 offset1:223
	ds_read2_b64 v[67:70], v136 offset0:84 offset1:201
	ds_read2_b64 v[71:74], v71 offset0:62 offset1:179
	ds_read2_b64 v[78:81], v78 offset0:40 offset1:157
	s_movk_i32 s4, 0x4d
	v_cmp_lt_u16_e32 vcc, s4, v120
	s_waitcnt vmcnt(0) lgkmcnt(0)
	s_barrier
	v_mul_f32_e32 v83, v61, v45
	v_mul_f32_e32 v85, v68, v47
	;; [unrolled: 1-line block ×8, first 2 shown]
	v_fma_f32 v83, v60, v44, -v83
	v_fma_f32 v85, v67, v46, -v85
	v_fmac_f32_e32 v86, v68, v46
	v_fma_f32 v68, v71, v40, -v87
	v_fma_f32 v71, v78, v42, -v89
	v_fmac_f32_e32 v84, v61, v44
	v_fmac_f32_e32 v92, v79, v42
	v_mul_f32_e32 v60, v63, v57
	v_mul_f32_e32 v61, v70, v59
	v_add_f32_e32 v78, v52, v83
	v_add_f32_e32 v79, v85, v68
	;; [unrolled: 1-line block ×3, first 2 shown]
	v_fmac_f32_e32 v88, v72, v40
	v_mul_f32_e32 v67, v74, v49
	v_fma_f32 v140, v62, v56, -v60
	v_fma_f32 v141, v69, v58, -v61
	v_add_f32_e32 v61, v78, v85
	v_fma_f32 v60, -0.5, v79, v52
	v_fma_f32 v52, -0.5, v138, v52
	v_sub_f32_e32 v134, v86, v88
	v_fma_f32 v142, v73, v48, -v67
	v_add_f32_e32 v61, v61, v68
	v_mov_b32_e32 v67, v52
	v_mul_f32_e32 v89, v69, v59
	v_sub_f32_e32 v93, v84, v92
	v_sub_f32_e32 v139, v85, v83
	v_add_f32_e32 v69, v61, v71
	v_fmac_f32_e32 v67, 0xbf737871, v134
	v_sub_f32_e32 v61, v68, v71
	v_fmac_f32_e32 v52, 0x3f737871, v134
	v_fmac_f32_e32 v67, 0x3f167918, v93
	v_add_f32_e32 v61, v139, v61
	v_fmac_f32_e32 v52, 0xbf167918, v93
	v_fmac_f32_e32 v67, 0x3e9e377a, v61
	;; [unrolled: 1-line block ×3, first 2 shown]
	v_add_f32_e32 v61, v53, v84
	v_add_f32_e32 v61, v61, v86
	v_mul_f32_e32 v87, v62, v57
	v_mov_b32_e32 v62, v60
	v_add_f32_e32 v61, v61, v88
	v_sub_f32_e32 v135, v83, v85
	v_sub_f32_e32 v137, v71, v68
	v_fmac_f32_e32 v89, v70, v58
	v_fmac_f32_e32 v60, 0xbf737871, v93
	;; [unrolled: 1-line block ×3, first 2 shown]
	v_add_f32_e32 v70, v61, v92
	v_add_f32_e32 v61, v86, v88
	v_fmac_f32_e32 v87, v63, v56
	v_add_f32_e32 v63, v135, v137
	v_fmac_f32_e32 v60, 0xbf167918, v134
	v_fmac_f32_e32 v62, 0x3f167918, v134
	v_fma_f32 v61, -0.5, v61, v53
	v_mul_f32_e32 v94, v73, v49
	v_mul_f32_e32 v72, v81, v51
	v_fmac_f32_e32 v60, 0x3e9e377a, v63
	v_fmac_f32_e32 v62, 0x3e9e377a, v63
	v_sub_f32_e32 v71, v83, v71
	v_mov_b32_e32 v63, v61
	v_fmac_f32_e32 v94, v74, v48
	v_fma_f32 v74, v80, v50, -v72
	v_fmac_f32_e32 v63, 0xbf737871, v71
	v_sub_f32_e32 v72, v85, v68
	v_sub_f32_e32 v68, v84, v86
	;; [unrolled: 1-line block ×3, first 2 shown]
	v_fmac_f32_e32 v61, 0x3f737871, v71
	v_fmac_f32_e32 v63, 0xbf167918, v72
	v_add_f32_e32 v68, v68, v73
	v_fmac_f32_e32 v61, 0x3f167918, v72
	v_fmac_f32_e32 v63, 0x3e9e377a, v68
	v_fmac_f32_e32 v61, 0x3e9e377a, v68
	v_add_f32_e32 v68, v84, v92
	v_fma_f32 v53, -0.5, v68, v53
	v_mov_b32_e32 v68, v53
	v_mul_f32_e32 v95, v80, v51
	v_fmac_f32_e32 v68, 0x3f737871, v72
	v_sub_f32_e32 v73, v86, v84
	v_sub_f32_e32 v78, v88, v92
	v_fmac_f32_e32 v53, 0xbf737871, v72
	v_add_f32_e32 v72, v141, v142
	v_fmac_f32_e32 v95, v81, v50
	v_fmac_f32_e32 v68, 0xbf167918, v71
	v_add_f32_e32 v73, v73, v78
	v_fmac_f32_e32 v53, 0x3f167918, v71
	v_fma_f32 v92, -0.5, v72, v54
	v_fmac_f32_e32 v68, 0x3e9e377a, v73
	v_fmac_f32_e32 v53, 0x3e9e377a, v73
	v_sub_f32_e32 v72, v87, v95
	v_mov_b32_e32 v73, v92
	v_fmac_f32_e32 v73, 0x3f737871, v72
	v_sub_f32_e32 v79, v89, v94
	v_sub_f32_e32 v78, v140, v141
	;; [unrolled: 1-line block ×3, first 2 shown]
	v_fmac_f32_e32 v92, 0xbf737871, v72
	v_fmac_f32_e32 v73, 0x3f167918, v79
	v_add_f32_e32 v78, v78, v80
	v_fmac_f32_e32 v92, 0xbf167918, v79
	v_fmac_f32_e32 v73, 0x3e9e377a, v78
	;; [unrolled: 1-line block ×3, first 2 shown]
	v_add_f32_e32 v78, v140, v74
	v_add_f32_e32 v71, v54, v140
	v_fma_f32 v54, -0.5, v78, v54
	v_mov_b32_e32 v78, v54
	v_add_f32_e32 v71, v71, v141
	v_fmac_f32_e32 v78, 0xbf737871, v79
	v_sub_f32_e32 v80, v141, v140
	v_sub_f32_e32 v81, v142, v74
	v_fmac_f32_e32 v54, 0x3f737871, v79
	v_add_f32_e32 v79, v89, v94
	v_add_f32_e32 v71, v71, v142
	v_fmac_f32_e32 v78, 0x3f167918, v72
	v_add_f32_e32 v80, v80, v81
	v_fmac_f32_e32 v54, 0xbf167918, v72
	v_fma_f32 v93, -0.5, v79, v55
	v_add_f32_e32 v71, v71, v74
	v_fmac_f32_e32 v78, 0x3e9e377a, v80
	v_fmac_f32_e32 v54, 0x3e9e377a, v80
	v_sub_f32_e32 v80, v140, v74
	v_mov_b32_e32 v74, v93
	v_fmac_f32_e32 v74, 0xbf737871, v80
	v_sub_f32_e32 v81, v141, v142
	v_sub_f32_e32 v79, v87, v89
	;; [unrolled: 1-line block ×3, first 2 shown]
	v_fmac_f32_e32 v93, 0x3f737871, v80
	v_fmac_f32_e32 v74, 0xbf167918, v81
	v_add_f32_e32 v79, v79, v83
	v_fmac_f32_e32 v93, 0x3f167918, v81
	v_fmac_f32_e32 v74, 0x3e9e377a, v79
	;; [unrolled: 1-line block ×3, first 2 shown]
	v_add_f32_e32 v79, v87, v95
	v_add_f32_e32 v72, v55, v87
	v_fmac_f32_e32 v55, -0.5, v79
	v_mov_b32_e32 v79, v55
	v_fmac_f32_e32 v79, 0x3f737871, v81
	v_fmac_f32_e32 v55, 0xbf737871, v81
	;; [unrolled: 1-line block ×4, first 2 shown]
	v_mov_b32_e32 v80, 0x186
	v_cndmask_b32_e32 v80, 0, v80, vcc
	v_add_f32_e32 v72, v72, v89
	v_add_lshl_u32 v134, v82, v80, 3
	v_add_f32_e32 v72, v72, v94
	v_sub_f32_e32 v83, v89, v87
	v_sub_f32_e32 v84, v94, v95
	ds_write2_b64 v134, v[69:70], v[62:63] offset1:78
	ds_write2_b64 v134, v[67:68], v[52:53] offset0:156 offset1:234
	ds_write_b64 v134, v[60:61] offset:2496
	v_mul_u32_u24_e32 v52, 0x186, v75
	v_add_f32_e32 v72, v72, v95
	v_add_f32_e32 v83, v83, v84
	v_add_lshl_u32 v135, v52, v64, 3
	v_add_u32_e32 v52, 0x600, v119
	v_fmac_f32_e32 v79, 0x3e9e377a, v83
	v_fmac_f32_e32 v55, 0x3e9e377a, v83
	ds_write2_b64 v135, v[71:72], v[73:74] offset1:78
	ds_write2_b64 v135, v[78:79], v[54:55] offset0:156 offset1:234
	ds_write_b64 v135, v[92:93] offset:2496
	s_waitcnt lgkmcnt(0)
	s_barrier
	ds_read2_b64 v[72:75], v52 offset0:42 offset1:198
	v_add_u32_e32 v52, 0x1800, v119
	ds_read2_b64 v[78:81], v119 offset1:117
	ds_read2_b64 v[82:85], v52 offset0:12 offset1:129
	ds_read2_b64 v[86:89], v136 offset0:123 offset1:240
	ds_read_b64 v[94:95], v119 offset:8112
	s_and_saveexec_b64 s[4:5], s[2:3]
	s_cbranch_execz .LBB0_11
; %bb.10:
	ds_read_b64 v[92:93], v119 offset:2808
	ds_read_b64 v[90:91], v119 offset:5928
	;; [unrolled: 1-line block ×3, first 2 shown]
.LBB0_11:
	s_or_b64 exec, exec, s[4:5]
	v_lshlrev_b32_e32 v52, 3, v66
	global_load_dwordx4 v[60:63], v52, s[14:15] offset:3104
	v_lshlrev_b32_e32 v52, 3, v65
	s_movk_i32 s4, 0xffd9
	global_load_dwordx4 v[64:67], v52, s[14:15] offset:3104
	global_load_dwordx4 v[68:71], v125, s[14:15] offset:3104
	v_add_co_u32_e32 v52, vcc, s4, v120
	v_addc_co_u32_e64 v53, s[4:5], 0, -1, vcc
	v_cndmask_b32_e64 v53, v53, v130, s[2:3]
	v_cndmask_b32_e64 v52, v52, v129, s[2:3]
	v_lshlrev_b64 v[52:53], 4, v[52:53]
	v_mov_b32_e32 v54, s15
	v_add_co_u32_e32 v52, vcc, s14, v52
	v_addc_co_u32_e32 v53, vcc, v54, v53, vcc
	global_load_dwordx4 v[52:55], v[52:53], off offset:3104
	v_add_u32_e32 v129, 0x1d40, v122
	s_waitcnt vmcnt(3) lgkmcnt(4)
	v_mul_f32_e32 v137, v74, v61
	s_waitcnt lgkmcnt(2)
	v_mul_f32_e32 v139, v82, v63
	s_waitcnt vmcnt(2) lgkmcnt(1)
	v_mul_f32_e32 v141, v86, v65
	v_mul_f32_e32 v143, v84, v67
	v_mul_f32_e32 v130, v75, v61
	v_mul_f32_e32 v138, v83, v63
	v_mul_f32_e32 v142, v85, v67
	s_waitcnt vmcnt(1)
	v_mul_f32_e32 v144, v89, v69
	s_waitcnt lgkmcnt(0)
	v_mul_f32_e32 v146, v95, v71
	v_mul_f32_e32 v147, v94, v71
	v_fmac_f32_e32 v137, v75, v60
	v_fmac_f32_e32 v139, v83, v62
	;; [unrolled: 1-line block ×4, first 2 shown]
	v_mul_f32_e32 v140, v87, v65
	v_mul_f32_e32 v145, v88, v69
	v_fma_f32 v74, v74, v60, -v130
	v_fma_f32 v75, v82, v62, -v138
	;; [unrolled: 1-line block ×5, first 2 shown]
	v_fmac_f32_e32 v147, v95, v70
	v_sub_f32_e32 v95, v137, v139
	v_add_f32_e32 v87, v79, v137
	v_add_f32_e32 v88, v137, v139
	;; [unrolled: 1-line block ×3, first 2 shown]
	v_fma_f32 v82, v86, v64, -v140
	v_add_f32_e32 v85, v74, v75
	v_add_f32_e32 v94, v81, v141
	;; [unrolled: 1-line block ×3, first 2 shown]
	v_fmac_f32_e32 v81, -0.5, v137
	v_fmac_f32_e32 v145, v89, v68
	v_add_f32_e32 v84, v78, v74
	v_sub_f32_e32 v144, v74, v75
	v_add_f32_e32 v74, v80, v82
	v_add_f32_e32 v89, v82, v83
	v_sub_f32_e32 v82, v82, v83
	v_add_f32_e32 v138, v72, v130
	v_fma_f32 v86, -0.5, v85, v78
	v_add_f32_e32 v85, v87, v139
	v_fma_f32 v87, -0.5, v88, v79
	v_fma_f32 v72, -0.5, v140, v72
	v_mov_b32_e32 v140, v81
	s_waitcnt vmcnt(0)
	v_mul_f32_e32 v78, v91, v53
	v_mul_f32_e32 v79, v77, v55
	v_add_f32_e32 v84, v84, v75
	v_add_f32_e32 v88, v74, v83
	v_fmac_f32_e32 v81, 0x3f5db3d7, v82
	v_mul_f32_e32 v74, v90, v53
	v_mul_f32_e32 v75, v76, v55
	v_fmac_f32_e32 v140, 0xbf5db3d7, v82
	v_fma_f32 v82, v90, v52, -v78
	v_fma_f32 v83, v76, v54, -v79
	v_sub_f32_e32 v76, v145, v147
	v_mov_b32_e32 v90, v72
	v_mov_b32_e32 v137, v86
	v_fmac_f32_e32 v90, 0x3f5db3d7, v76
	v_fmac_f32_e32 v72, 0xbf5db3d7, v76
	v_add_f32_e32 v76, v73, v145
	v_fmac_f32_e32 v86, 0xbf5db3d7, v95
	v_fmac_f32_e32 v137, 0x3f5db3d7, v95
	v_add_f32_e32 v95, v76, v147
	v_add_f32_e32 v76, v145, v147
	v_fmac_f32_e32 v73, -0.5, v76
	v_fmac_f32_e32 v74, v91, v52
	v_sub_f32_e32 v76, v130, v142
	v_mov_b32_e32 v91, v73
	v_fmac_f32_e32 v91, 0xbf5db3d7, v76
	v_fmac_f32_e32 v73, 0x3f5db3d7, v76
	v_add_f32_e32 v76, v82, v83
	v_fmac_f32_e32 v75, v77, v54
	v_fma_f32 v78, -0.5, v76, v92
	v_sub_f32_e32 v77, v74, v75
	v_mov_b32_e32 v76, v78
	v_fmac_f32_e32 v76, 0x3f5db3d7, v77
	v_fmac_f32_e32 v78, 0xbf5db3d7, v77
	v_add_f32_e32 v77, v74, v75
	v_fma_f32 v79, -0.5, v77, v93
	v_fma_f32 v80, -0.5, v89, v80
	v_add_f32_e32 v89, v94, v143
	v_add_f32_e32 v94, v138, v142
	v_mov_b32_e32 v138, v87
	v_sub_f32_e32 v130, v82, v83
	v_mov_b32_e32 v77, v79
	v_sub_f32_e32 v146, v141, v143
	v_mov_b32_e32 v139, v80
	v_fmac_f32_e32 v138, 0xbf5db3d7, v144
	v_fmac_f32_e32 v77, 0xbf5db3d7, v130
	;; [unrolled: 1-line block ×6, first 2 shown]
	ds_write_b64 v119, v[137:138] offset:3120
	ds_write_b64 v119, v[86:87] offset:6240
	ds_write2_b64 v119, v[84:85], v[88:89] offset1:117
	ds_write_b64 v119, v[80:81] offset:7176
	ds_write_b64 v119, v[94:95] offset:1872
	ds_write2_b64 v136, v[139:140], v[90:91] offset0:123 offset1:240
	ds_write_b64 v119, v[72:73] offset:8112
	s_and_saveexec_b64 s[4:5], s[2:3]
	s_cbranch_execz .LBB0_13
; %bb.12:
	v_add_f32_e32 v72, v93, v74
	v_add_f32_e32 v73, v72, v75
	;; [unrolled: 1-line block ×4, first 2 shown]
	ds_write_b64 v119, v[72:73] offset:2808
	ds_write_b64 v119, v[76:77] offset:5928
	;; [unrolled: 1-line block ×3, first 2 shown]
.LBB0_13:
	s_or_b64 exec, exec, s[4:5]
	v_lshlrev_b32_e32 v72, 3, v120
	v_mov_b32_e32 v73, s13
	v_add_co_u32_e32 v82, vcc, s12, v72
	v_addc_co_u32_e32 v83, vcc, 0, v73, vcc
	v_add_co_u32_e32 v72, vcc, 0x2490, v82
	v_addc_co_u32_e32 v73, vcc, 0, v83, vcc
	;; [unrolled: 2-line block ×3, first 2 shown]
	s_waitcnt lgkmcnt(0)
	s_barrier
	global_load_dwordx2 v[84:85], v[72:73], off offset:936
	global_load_dwordx2 v[80:81], v[74:75], off offset:1168
	v_add_co_u32_e32 v74, vcc, 0x3000, v82
	v_addc_co_u32_e32 v75, vcc, 0, v83, vcc
	s_movk_i32 s4, 0x4000
	global_load_dwordx2 v[92:93], v[74:75], off offset:1752
	global_load_dwordx2 v[94:95], v[74:75], off offset:2688
	;; [unrolled: 1-line block ×5, first 2 shown]
	v_add_co_u32_e32 v74, vcc, s4, v82
	v_addc_co_u32_e32 v75, vcc, 0, v83, vcc
	global_load_dwordx2 v[146:147], v[74:75], off offset:464
	global_load_dwordx2 v[148:149], v[72:73], off offset:3744
	;; [unrolled: 1-line block ×3, first 2 shown]
	ds_read2_b64 v[72:75], v119 offset1:117
	v_add_u32_e32 v156, 0xc00, v119
	v_add_u32_e32 v136, 0x1400, v119
	;; [unrolled: 1-line block ×7, first 2 shown]
	s_waitcnt vmcnt(9) lgkmcnt(0)
	v_mul_f32_e32 v83, v75, v85
	v_mul_f32_e32 v153, v74, v85
	s_waitcnt vmcnt(8)
	v_mul_f32_e32 v85, v73, v81
	v_mul_f32_e32 v82, v72, v81
	v_fma_f32 v81, v72, v80, -v85
	v_fmac_f32_e32 v82, v73, v80
	ds_write_b64 v119, v[81:82]
	v_fma_f32 v152, v74, v84, -v83
	ds_read2_b64 v[80:83], v156 offset0:84 offset1:201
	v_fmac_f32_e32 v153, v75, v84
	ds_read2_b64 v[72:75], v136 offset0:62 offset1:179
	ds_read2_b64 v[84:87], v139 offset0:106 offset1:223
	ds_read2_b64 v[88:91], v157 offset0:40 offset1:157
	s_waitcnt vmcnt(7) lgkmcnt(3)
	v_mul_f32_e32 v154, v83, v93
	v_mul_f32_e32 v155, v82, v93
	s_waitcnt vmcnt(6) lgkmcnt(2)
	v_mul_f32_e32 v158, v73, v95
	v_mul_f32_e32 v93, v72, v95
	;; [unrolled: 3-line block ×3, first 2 shown]
	v_mul_f32_e32 v160, v75, v141
	v_mul_f32_e32 v143, v74, v141
	s_waitcnt vmcnt(3)
	v_mul_f32_e32 v161, v87, v145
	v_mul_f32_e32 v141, v86, v145
	s_waitcnt vmcnt(2) lgkmcnt(0)
	v_mul_f32_e32 v162, v89, v147
	v_mul_f32_e32 v145, v88, v147
	s_waitcnt vmcnt(1)
	v_mul_f32_e32 v163, v81, v149
	v_mul_f32_e32 v147, v80, v149
	s_waitcnt vmcnt(0)
	v_mul_f32_e32 v164, v91, v151
	v_mul_f32_e32 v149, v90, v151
	v_fma_f32 v154, v82, v92, -v154
	v_fmac_f32_e32 v155, v83, v92
	v_fma_f32 v92, v72, v94, -v158
	v_fmac_f32_e32 v93, v73, v94
	;; [unrolled: 2-line block ×8, first 2 shown]
	ds_write2_b64 v137, v[154:155], v[92:93] offset0:73 offset1:190
	ds_write2_b64 v119, v[152:153], v[94:95] offset0:117 offset1:234
	;; [unrolled: 1-line block ×4, first 2 shown]
	ds_write_b64 v119, v[148:149] offset:8424
	s_waitcnt lgkmcnt(0)
	s_barrier
	ds_read2_b64 v[82:85], v119 offset1:117
	ds_read2_b64 v[92:95], v156 offset0:84 offset1:201
	ds_read2_b64 v[86:89], v136 offset0:62 offset1:179
	ds_read2_b64 v[140:143], v139 offset0:106 offset1:223
	ds_read2_b64 v[144:147], v157 offset0:40 offset1:157
	s_waitcnt lgkmcnt(0)
	v_sub_f32_e32 v74, v82, v94
	v_sub_f32_e32 v75, v83, v95
	v_fma_f32 v72, v82, 2.0, -v74
	v_fma_f32 v73, v83, 2.0, -v75
	v_sub_f32_e32 v82, v84, v86
	v_sub_f32_e32 v83, v85, v87
	;; [unrolled: 1-line block ×8, first 2 shown]
	v_fma_f32 v80, v84, 2.0, -v82
	v_fma_f32 v81, v85, 2.0, -v83
	;; [unrolled: 1-line block ×8, first 2 shown]
	s_barrier
	ds_write_b128 v122, v[72:75]
	ds_write_b128 v124, v[80:83]
	;; [unrolled: 1-line block ×5, first 2 shown]
	s_waitcnt lgkmcnt(0)
	s_barrier
	s_and_saveexec_b64 s[4:5], s[0:1]
	s_cbranch_execz .LBB0_15
; %bb.14:
	ds_read2_b64 v[72:75], v119 offset1:90
	ds_read2_b64 v[80:83], v139 offset0:52 offset1:142
	ds_read2_b64 v[84:87], v138 offset0:104 offset1:194
	;; [unrolled: 1-line block ×5, first 2 shown]
	ds_read_b64 v[117:118], v119 offset:8640
.LBB0_15:
	s_or_b64 exec, exec, s[4:5]
	s_waitcnt lgkmcnt(6)
	v_mul_f32_e32 v122, v17, v75
	v_mul_f32_e32 v17, v17, v74
	v_fmac_f32_e32 v122, v16, v74
	v_fma_f32 v124, v16, v75, -v17
	s_waitcnt lgkmcnt(5)
	v_mul_f32_e32 v74, v19, v81
	v_mul_f32_e32 v16, v19, v80
	;; [unrolled: 1-line block ×4, first 2 shown]
	v_fmac_f32_e32 v74, v18, v80
	v_fma_f32 v80, v18, v81, -v16
	v_fmac_f32_e32 v75, v8, v82
	v_fma_f32 v81, v8, v83, -v9
	s_waitcnt lgkmcnt(4)
	v_mul_f32_e32 v8, v11, v85
	v_mul_f32_e32 v9, v11, v84
	v_fmac_f32_e32 v8, v10, v84
	v_fma_f32 v10, v10, v85, -v9
	v_mul_f32_e32 v9, v5, v87
	v_mul_f32_e32 v5, v5, v86
	v_fma_f32 v11, v4, v87, -v5
	s_waitcnt lgkmcnt(3)
	v_mul_f32_e32 v5, v7, v88
	v_fmac_f32_e32 v9, v4, v86
	v_mul_f32_e32 v4, v7, v89
	v_fma_f32 v7, v6, v89, -v5
	v_mul_f32_e32 v5, v1, v91
	v_mul_f32_e32 v1, v1, v90
	v_fmac_f32_e32 v5, v0, v90
	v_fma_f32 v83, v0, v91, -v1
	s_waitcnt lgkmcnt(2)
	v_mul_f32_e32 v0, v3, v92
	v_fma_f32 v84, v2, v93, -v0
	v_mul_f32_e32 v0, v21, v94
	v_fma_f32 v85, v20, v95, -v0
	s_waitcnt lgkmcnt(1)
	v_mul_f32_e32 v0, v23, v76
	v_mul_f32_e32 v82, v23, v77
	v_fma_f32 v23, v22, v77, -v0
	v_mul_f32_e32 v0, v13, v78
	v_fmac_f32_e32 v82, v22, v76
	v_mul_f32_e32 v22, v13, v79
	v_fma_f32 v76, v12, v79, -v0
	s_waitcnt lgkmcnt(0)
	v_mul_f32_e32 v0, v15, v117
	v_fmac_f32_e32 v22, v12, v78
	v_mul_f32_e32 v12, v15, v118
	v_fma_f32 v15, v14, v118, -v0
	v_fmac_f32_e32 v12, v14, v117
	v_sub_f32_e32 v87, v124, v15
	v_fmac_f32_e32 v4, v6, v88
	v_mul_f32_e32 v6, v3, v93
	v_add_f32_e32 v0, v12, v122
	v_add_f32_e32 v89, v15, v124
	s_mov_b32 s12, 0x3f116cb1
	v_mul_f32_e32 v93, 0xbf52af12, v87
	v_fmac_f32_e32 v6, v2, v92
	v_mul_f32_e32 v117, 0x3f116cb1, v89
	v_fma_f32 v2, v0, s12, -v93
	v_sub_f32_e32 v1, v122, v12
	v_add_f32_e32 v14, v72, v2
	v_mov_b32_e32 v2, v117
	v_fmac_f32_e32 v2, 0xbf52af12, v1
	s_mov_b32 s13, 0x3df6dbef
	v_mul_f32_e32 v129, 0xbf7e222b, v87
	v_add_f32_e32 v16, v73, v2
	v_mul_f32_e32 v136, 0x3df6dbef, v89
	v_fma_f32 v2, v0, s13, -v129
	v_add_f32_e32 v17, v72, v2
	v_mov_b32_e32 v2, v136
	v_fmac_f32_e32 v2, 0xbf7e222b, v1
	s_mov_b32 s14, 0xbeb58ec6
	v_mul_f32_e32 v142, 0xbf6f5d39, v87
	v_add_f32_e32 v18, v73, v2
	v_mul_f32_e32 v147, 0xbeb58ec6, v89
	v_fma_f32 v2, v0, s14, -v142
	v_add_f32_e32 v19, v72, v2
	v_mov_b32_e32 v2, v147
	v_mul_f32_e32 v3, v21, v95
	v_fmac_f32_e32 v2, 0xbf6f5d39, v1
	v_sub_f32_e32 v91, v80, v76
	v_fmac_f32_e32 v3, v20, v94
	v_add_f32_e32 v20, v73, v2
	v_add_f32_e32 v2, v22, v74
	;; [unrolled: 1-line block ×3, first 2 shown]
	v_mul_f32_e32 v118, 0xbf6f5d39, v91
	v_mul_f32_e32 v130, 0xbeb58ec6, v94
	v_fma_f32 v21, v2, s14, -v118
	v_sub_f32_e32 v13, v74, v22
	v_add_f32_e32 v21, v21, v14
	v_mov_b32_e32 v14, v130
	v_fmac_f32_e32 v14, 0xbf6f5d39, v13
	s_mov_b32 s15, 0xbf788fa5
	v_mul_f32_e32 v140, 0xbe750f2a, v91
	v_add_f32_e32 v16, v14, v16
	v_mul_f32_e32 v143, 0xbf788fa5, v94
	v_fma_f32 v14, v2, s15, -v140
	v_add_f32_e32 v17, v14, v17
	v_mov_b32_e32 v14, v143
	v_fmac_f32_e32 v14, 0xbe750f2a, v13
	s_mov_b32 s16, 0xbf3f9e67
	v_mul_f32_e32 v150, 0x3f29c268, v91
	v_add_f32_e32 v18, v14, v18
	v_mul_f32_e32 v154, 0xbf3f9e67, v94
	v_fma_f32 v14, v2, s16, -v150
	v_add_f32_e32 v19, v14, v19
	v_mov_b32_e32 v14, v154
	v_fmac_f32_e32 v14, 0x3f29c268, v13
	v_sub_f32_e32 v95, v81, v23
	v_add_f32_e32 v20, v14, v20
	v_add_f32_e32 v14, v82, v75
	;; [unrolled: 1-line block ×3, first 2 shown]
	v_mul_f32_e32 v137, 0xbe750f2a, v95
	v_mul_f32_e32 v141, 0xbf788fa5, v125
	v_fma_f32 v78, v14, s15, -v137
	v_sub_f32_e32 v77, v75, v82
	v_add_f32_e32 v21, v78, v21
	v_mov_b32_e32 v78, v141
	v_fmac_f32_e32 v78, 0xbe750f2a, v77
	v_mul_f32_e32 v148, 0x3f6f5d39, v95
	v_add_f32_e32 v16, v78, v16
	v_mul_f32_e32 v151, 0xbeb58ec6, v125
	v_fma_f32 v78, v14, s14, -v148
	v_add_f32_e32 v17, v78, v17
	v_mov_b32_e32 v78, v151
	v_fmac_f32_e32 v78, 0x3f6f5d39, v77
	s_mov_b32 s17, 0x3f62ad3f
	v_mul_f32_e32 v157, 0x3eedf032, v95
	v_add_f32_e32 v18, v78, v18
	v_mul_f32_e32 v160, 0x3f62ad3f, v125
	v_fma_f32 v78, v14, s17, -v157
	v_add_f32_e32 v19, v78, v19
	v_mov_b32_e32 v78, v160
	v_fmac_f32_e32 v78, 0x3eedf032, v77
	v_sub_f32_e32 v126, v10, v85
	v_add_f32_e32 v20, v78, v20
	v_add_f32_e32 v78, v3, v8
	;; [unrolled: 1-line block ×3, first 2 shown]
	v_mul_f32_e32 v145, 0x3f29c268, v126
	v_mul_f32_e32 v149, 0xbf3f9e67, v139
	v_fma_f32 v86, v78, s16, -v145
	v_sub_f32_e32 v79, v8, v3
	v_add_f32_e32 v21, v86, v21
	v_mov_b32_e32 v86, v149
	v_fmac_f32_e32 v86, 0x3f29c268, v79
	v_mul_f32_e32 v155, 0x3eedf032, v126
	v_add_f32_e32 v16, v86, v16
	v_mul_f32_e32 v158, 0x3f62ad3f, v139
	v_fma_f32 v86, v78, s17, -v155
	v_add_f32_e32 v17, v86, v17
	v_mov_b32_e32 v86, v158
	v_fmac_f32_e32 v86, 0x3eedf032, v79
	v_mul_f32_e32 v163, 0xbf7e222b, v126
	v_add_f32_e32 v18, v86, v18
	v_mul_f32_e32 v165, 0x3df6dbef, v139
	v_fma_f32 v86, v78, s13, -v163
	v_add_f32_e32 v19, v86, v19
	v_mov_b32_e32 v86, v165
	v_fmac_f32_e32 v86, 0xbf7e222b, v79
	v_sub_f32_e32 v138, v11, v84
	v_add_f32_e32 v20, v86, v20
	v_add_f32_e32 v86, v6, v9
	;; [unrolled: 1-line block ×3, first 2 shown]
	v_mul_f32_e32 v153, 0x3f7e222b, v138
	v_mul_f32_e32 v156, 0x3df6dbef, v146
	v_fma_f32 v90, v86, s13, -v153
	v_sub_f32_e32 v88, v9, v6
	v_add_f32_e32 v21, v90, v21
	v_mov_b32_e32 v90, v156
	v_fmac_f32_e32 v90, 0x3f7e222b, v88
	v_mul_f32_e32 v161, 0xbf52af12, v138
	v_add_f32_e32 v16, v90, v16
	v_mul_f32_e32 v164, 0x3f116cb1, v146
	v_fma_f32 v90, v86, s12, -v161
	v_add_f32_e32 v17, v90, v17
	v_mov_b32_e32 v90, v164
	v_fmac_f32_e32 v90, 0xbf52af12, v88
	v_mul_f32_e32 v167, 0x3e750f2a, v138
	v_add_f32_e32 v152, v83, v7
	v_add_f32_e32 v170, v90, v18
	v_fma_f32 v18, v86, s15, -v167
	v_mul_f32_e32 v162, 0x3f62ad3f, v152
	v_mul_f32_e32 v169, 0xbf788fa5, v146
	v_add_f32_e32 v172, v18, v19
	v_sub_f32_e32 v92, v4, v5
	v_sub_f32_e32 v144, v7, v83
	v_mov_b32_e32 v19, v162
	v_mov_b32_e32 v18, v169
	v_add_f32_e32 v90, v5, v4
	v_fmac_f32_e32 v19, 0x3eedf032, v92
	v_mul_f32_e32 v166, 0xbf29c268, v144
	v_fmac_f32_e32 v18, 0x3e750f2a, v88
	v_add_f32_e32 v19, v19, v16
	v_mul_f32_e32 v168, 0xbf3f9e67, v152
	v_fma_f32 v16, v90, s16, -v166
	v_add_f32_e32 v173, v18, v20
	v_mul_f32_e32 v159, 0x3eedf032, v144
	v_add_f32_e32 v20, v16, v17
	v_mov_b32_e32 v16, v168
	v_fma_f32 v18, v90, s17, -v159
	v_fmac_f32_e32 v16, 0xbf29c268, v92
	v_mul_f32_e32 v171, 0x3f116cb1, v152
	v_add_f32_e32 v18, v18, v21
	v_add_f32_e32 v21, v16, v170
	v_mul_f32_e32 v170, 0x3f52af12, v144
	v_mov_b32_e32 v17, v171
	v_fma_f32 v16, v90, s12, -v170
	v_fmac_f32_e32 v17, 0x3f52af12, v92
	v_add_f32_e32 v16, v16, v172
	v_add_f32_e32 v17, v17, v173
	s_barrier
	s_and_saveexec_b64 s[4:5], s[0:1]
	s_cbranch_execz .LBB0_17
; %bb.16:
	v_mul_f32_e32 v183, 0xbf6f5d39, v1
	v_mul_f32_e32 v189, 0x3f29c268, v13
	v_sub_f32_e32 v147, v147, v183
	v_mul_f32_e32 v195, 0x3eedf032, v77
	v_add_f32_e32 v147, v73, v147
	v_sub_f32_e32 v154, v154, v189
	v_mul_f32_e32 v201, 0xbf7e222b, v79
	v_add_f32_e32 v147, v154, v147
	;; [unrolled: 3-line block ×3, first 2 shown]
	v_sub_f32_e32 v154, v165, v201
	v_mul_f32_e32 v182, 0xbeb58ec6, v0
	v_mul_f32_e32 v213, 0x3f52af12, v92
	v_add_f32_e32 v147, v154, v147
	v_sub_f32_e32 v154, v169, v207
	v_mul_f32_e32 v188, 0xbf3f9e67, v2
	v_add_f32_e32 v147, v154, v147
	v_sub_f32_e32 v154, v171, v213
	v_add_f32_e32 v142, v182, v142
	v_mul_f32_e32 v194, 0x3f62ad3f, v14
	v_add_f32_e32 v171, v154, v147
	v_add_f32_e32 v142, v72, v142
	;; [unrolled: 1-line block ×3, first 2 shown]
	v_mul_f32_e32 v200, 0x3df6dbef, v78
	v_add_f32_e32 v142, v147, v142
	v_add_f32_e32 v147, v194, v157
	v_mul_f32_e32 v206, 0xbf788fa5, v86
	v_add_f32_e32 v142, v147, v142
	v_add_f32_e32 v147, v200, v163
	v_mul_f32_e32 v181, 0xbf7e222b, v1
	v_mul_f32_e32 v212, 0x3f116cb1, v90
	v_add_f32_e32 v142, v147, v142
	v_add_f32_e32 v147, v206, v167
	v_mul_f32_e32 v187, 0xbe750f2a, v13
	v_mul_f32_e32 v176, 0xbf29c268, v1
	v_add_f32_e32 v142, v147, v142
	v_add_f32_e32 v147, v212, v170
	v_sub_f32_e32 v136, v136, v181
	v_mul_f32_e32 v193, 0x3f6f5d39, v77
	v_mov_b32_e32 v172, v176
	v_mul_f32_e32 v177, 0x3f7e222b, v13
	v_add_f32_e32 v170, v147, v142
	v_add_f32_e32 v136, v73, v136
	v_sub_f32_e32 v142, v143, v187
	v_mul_f32_e32 v199, 0x3eedf032, v79
	v_fmac_f32_e32 v172, 0xbf3f9e67, v89
	v_mov_b32_e32 v173, v177
	v_add_f32_e32 v136, v142, v136
	v_sub_f32_e32 v142, v151, v193
	v_mul_f32_e32 v205, 0xbf52af12, v88
	v_add_f32_e32 v172, v73, v172
	v_fmac_f32_e32 v173, 0x3df6dbef, v94
	v_mul_f32_e32 v214, 0xbf52af12, v77
	v_add_f32_e32 v136, v142, v136
	v_sub_f32_e32 v142, v158, v199
	v_mul_f32_e32 v180, 0x3df6dbef, v0
	v_mul_f32_e32 v211, 0xbf29c268, v92
	v_add_f32_e32 v172, v173, v172
	v_mov_b32_e32 v173, v214
	v_add_f32_e32 v136, v142, v136
	v_sub_f32_e32 v142, v164, v205
	v_mul_f32_e32 v186, 0xbf788fa5, v2
	v_fmac_f32_e32 v173, 0x3f116cb1, v125
	v_mul_f32_e32 v215, 0x3e750f2a, v79
	v_add_f32_e32 v136, v142, v136
	v_sub_f32_e32 v142, v168, v211
	v_add_f32_e32 v129, v180, v129
	v_mul_f32_e32 v192, 0xbeb58ec6, v14
	v_add_f32_e32 v172, v173, v172
	v_mov_b32_e32 v173, v215
	v_add_f32_e32 v143, v142, v136
	v_add_f32_e32 v129, v72, v129
	;; [unrolled: 1-line block ×3, first 2 shown]
	v_mul_f32_e32 v198, 0x3f62ad3f, v78
	v_fmac_f32_e32 v173, 0xbf788fa5, v139
	v_mul_f32_e32 v216, 0x3eedf032, v88
	v_add_f32_e32 v129, v136, v129
	v_add_f32_e32 v136, v192, v148
	v_mul_f32_e32 v204, 0x3f116cb1, v86
	v_add_f32_e32 v172, v173, v172
	v_mov_b32_e32 v173, v216
	v_add_f32_e32 v129, v136, v129
	v_add_f32_e32 v136, v198, v155
	v_mul_f32_e32 v179, 0xbf52af12, v1
	v_mul_f32_e32 v210, 0xbf3f9e67, v90
	v_fmac_f32_e32 v173, 0x3f62ad3f, v146
	v_mul_f32_e32 v217, 0xbf6f5d39, v92
	v_add_f32_e32 v129, v136, v129
	v_add_f32_e32 v136, v204, v161
	v_mul_f32_e32 v185, 0xbf6f5d39, v13
	v_add_f32_e32 v172, v173, v172
	v_mov_b32_e32 v173, v217
	v_add_f32_e32 v129, v136, v129
	v_add_f32_e32 v136, v210, v166
	v_sub_f32_e32 v117, v117, v179
	v_mul_f32_e32 v191, 0xbe750f2a, v77
	v_fmac_f32_e32 v173, 0xbeb58ec6, v152
	v_mul_f32_e32 v218, 0xbf29c268, v87
	v_add_f32_e32 v142, v136, v129
	v_add_f32_e32 v117, v73, v117
	v_sub_f32_e32 v129, v130, v185
	v_mul_f32_e32 v197, 0x3f29c268, v79
	v_add_f32_e32 v173, v173, v172
	v_fma_f32 v172, v0, s16, -v218
	v_mul_f32_e32 v219, 0x3f7e222b, v91
	v_add_f32_e32 v117, v129, v117
	v_sub_f32_e32 v129, v141, v191
	v_mul_f32_e32 v203, 0x3f7e222b, v88
	v_add_f32_e32 v172, v72, v172
	v_fma_f32 v174, v2, s13, -v219
	v_mul_f32_e32 v220, 0xbf52af12, v95
	v_add_f32_e32 v117, v129, v117
	v_sub_f32_e32 v129, v149, v197
	v_mul_f32_e32 v178, 0x3f116cb1, v0
	v_mul_f32_e32 v209, 0x3eedf032, v92
	v_add_f32_e32 v172, v174, v172
	v_fma_f32 v174, v14, s12, -v220
	v_mul_f32_e32 v221, 0x3e750f2a, v126
	v_add_f32_e32 v117, v129, v117
	v_sub_f32_e32 v129, v156, v203
	v_mul_f32_e32 v184, 0xbeb58ec6, v2
	v_add_f32_e32 v172, v174, v172
	v_fma_f32 v174, v78, s15, -v221
	v_mul_f32_e32 v222, 0x3eedf032, v138
	v_add_f32_e32 v117, v129, v117
	v_sub_f32_e32 v129, v162, v209
	v_add_f32_e32 v93, v178, v93
	v_mul_f32_e32 v190, 0xbf788fa5, v14
	v_add_f32_e32 v172, v174, v172
	v_fma_f32 v174, v86, s17, -v222
	v_mul_f32_e32 v223, 0xbf6f5d39, v144
	v_add_f32_e32 v130, v129, v117
	v_add_f32_e32 v93, v72, v93
	;; [unrolled: 1-line block ×4, first 2 shown]
	v_mul_f32_e32 v196, 0xbf3f9e67, v78
	v_add_f32_e32 v172, v174, v172
	v_fma_f32 v174, v90, s14, -v223
	v_mul_f32_e32 v224, 0xbf788fa5, v89
	v_add_f32_e32 v93, v117, v93
	v_add_f32_e32 v117, v190, v137
	;; [unrolled: 1-line block ×3, first 2 shown]
	v_mul_f32_e32 v202, 0x3df6dbef, v86
	v_add_f32_e32 v172, v174, v172
	v_mov_b32_e32 v174, v224
	v_mul_f32_e32 v225, 0x3f62ad3f, v94
	v_add_f32_e32 v93, v117, v93
	v_add_f32_e32 v117, v196, v145
	;; [unrolled: 1-line block ×3, first 2 shown]
	v_mul_f32_e32 v208, 0x3f62ad3f, v90
	v_fmac_f32_e32 v174, 0x3e750f2a, v1
	v_mov_b32_e32 v175, v225
	v_add_f32_e32 v93, v117, v93
	v_add_f32_e32 v117, v202, v153
	v_add_f32_e32 v10, v10, v80
	v_add_f32_e32 v174, v73, v174
	v_fmac_f32_e32 v175, 0xbeedf032, v13
	v_mul_f32_e32 v226, 0xbf3f9e67, v125
	v_fma_f32 v176, v89, s16, -v176
	v_add_f32_e32 v93, v117, v93
	v_add_f32_e32 v117, v208, v159
	v_mul_f32_e32 v89, 0x3f62ad3f, v89
	v_add_f32_e32 v10, v11, v10
	v_add_f32_e32 v174, v175, v174
	v_mov_b32_e32 v175, v226
	v_add_f32_e32 v129, v117, v93
	v_mov_b32_e32 v93, v89
	v_mul_f32_e32 v117, 0x3f116cb1, v94
	v_add_f32_e32 v7, v7, v10
	v_add_f32_e32 v10, v72, v122
	v_fmac_f32_e32 v175, 0x3f29c268, v77
	v_mul_f32_e32 v227, 0x3f116cb1, v139
	v_fma_f32 v177, v94, s13, -v177
	v_fmac_f32_e32 v93, 0x3eedf032, v1
	v_mov_b32_e32 v94, v117
	v_add_f32_e32 v10, v74, v10
	v_add_f32_e32 v174, v175, v174
	v_mov_b32_e32 v175, v227
	v_add_f32_e32 v93, v73, v93
	v_fmac_f32_e32 v94, 0x3f52af12, v13
	v_mul_f32_e32 v118, 0x3df6dbef, v125
	v_add_f32_e32 v10, v75, v10
	v_fmac_f32_e32 v175, 0xbf52af12, v79
	v_mul_f32_e32 v228, 0xbeb58ec6, v146
	v_add_f32_e32 v176, v73, v176
	v_add_f32_e32 v93, v94, v93
	v_mov_b32_e32 v94, v118
	v_add_f32_e32 v8, v8, v10
	v_add_f32_e32 v174, v175, v174
	v_mov_b32_e32 v175, v228
	v_add_f32_e32 v176, v177, v176
	v_fma_f32 v177, v125, s12, -v214
	v_fmac_f32_e32 v94, 0x3f7e222b, v77
	v_mul_f32_e32 v125, 0xbeb58ec6, v139
	v_add_f32_e32 v8, v9, v8
	v_fmac_f32_e32 v175, 0x3f6f5d39, v88
	v_mul_f32_e32 v229, 0x3df6dbef, v152
	v_add_f32_e32 v93, v94, v93
	v_mov_b32_e32 v94, v125
	v_add_f32_e32 v4, v4, v8
	v_add_f32_e32 v174, v175, v174
	v_mov_b32_e32 v175, v229
	v_fmac_f32_e32 v94, 0x3f6f5d39, v79
	v_mul_f32_e32 v136, 0xbf3f9e67, v146
	v_add_f32_e32 v4, v5, v4
	v_fmac_f32_e32 v175, 0xbf7e222b, v92
	v_mul_f32_e32 v230, 0xbe750f2a, v87
	v_add_f32_e32 v93, v94, v93
	v_mov_b32_e32 v94, v136
	v_add_f32_e32 v4, v6, v4
	v_add_f32_e32 v175, v175, v174
	v_mov_b32_e32 v174, v230
	v_mul_f32_e32 v231, 0x3eedf032, v91
	v_fmac_f32_e32 v94, 0x3f29c268, v88
	v_mul_f32_e32 v137, 0xbf788fa5, v152
	v_add_f32_e32 v3, v3, v4
	v_fmac_f32_e32 v174, 0xbf788fa5, v0
	v_mov_b32_e32 v232, v231
	v_add_f32_e32 v93, v94, v93
	v_mov_b32_e32 v94, v137
	v_add_f32_e32 v3, v82, v3
	v_add_f32_e32 v174, v72, v174
	v_fmac_f32_e32 v232, 0x3f62ad3f, v2
	v_fmac_f32_e32 v94, 0x3e750f2a, v92
	v_mul_f32_e32 v87, 0xbeedf032, v87
	v_add_f32_e32 v3, v22, v3
	v_fmac_f32_e32 v224, 0xbe750f2a, v1
	v_add_f32_e32 v174, v232, v174
	v_mul_f32_e32 v232, 0xbf29c268, v95
	v_add_f32_e32 v94, v94, v93
	v_mov_b32_e32 v93, v87
	v_mul_f32_e32 v91, 0xbf52af12, v91
	v_add_f32_e32 v6, v12, v3
	v_add_f32_e32 v3, v73, v224
	v_fmac_f32_e32 v225, 0x3eedf032, v13
	v_mov_b32_e32 v233, v232
	v_add_f32_e32 v176, v177, v176
	v_fma_f32 v177, v139, s15, -v215
	v_fmac_f32_e32 v93, 0x3f62ad3f, v0
	v_mov_b32_e32 v139, v91
	v_add_f32_e32 v3, v225, v3
	v_fmac_f32_e32 v226, 0xbf29c268, v77
	v_fmac_f32_e32 v233, 0xbf3f9e67, v14
	v_add_f32_e32 v93, v72, v93
	v_fmac_f32_e32 v139, 0x3f116cb1, v2
	v_mul_f32_e32 v95, 0xbf7e222b, v95
	v_add_f32_e32 v3, v226, v3
	v_fmac_f32_e32 v227, 0x3f52af12, v79
	v_add_f32_e32 v174, v233, v174
	v_mul_f32_e32 v233, 0x3f52af12, v126
	v_add_f32_e32 v93, v139, v93
	v_mov_b32_e32 v139, v95
	v_add_f32_e32 v3, v227, v3
	v_fmac_f32_e32 v228, 0xbf6f5d39, v88
	v_mov_b32_e32 v234, v233
	v_fmac_f32_e32 v139, 0x3df6dbef, v14
	v_mul_f32_e32 v126, 0xbf6f5d39, v126
	v_add_f32_e32 v3, v228, v3
	v_fmac_f32_e32 v229, 0x3f7e222b, v92
	v_fmac_f32_e32 v234, 0x3f116cb1, v78
	;; [unrolled: 1-line block ×3, first 2 shown]
	v_add_f32_e32 v93, v139, v93
	v_mov_b32_e32 v139, v126
	v_add_f32_e32 v4, v229, v3
	v_fma_f32 v3, v0, s15, -v230
	v_fma_f32 v0, v0, s17, -v87
	v_add_f32_e32 v174, v234, v174
	v_mul_f32_e32 v234, 0xbf6f5d39, v138
	v_fmac_f32_e32 v219, 0x3df6dbef, v2
	v_fmac_f32_e32 v139, 0xbeb58ec6, v78
	v_mul_f32_e32 v138, 0xbf29c268, v138
	v_fma_f32 v5, v2, s17, -v231
	v_add_f32_e32 v0, v72, v0
	v_fma_f32 v2, v2, s12, -v91
	v_add_f32_e32 v176, v177, v176
	v_fma_f32 v177, v146, s17, -v216
	v_add_f32_e32 v93, v139, v93
	v_mov_b32_e32 v139, v138
	v_add_f32_e32 v0, v2, v0
	v_fma_f32 v2, v14, s13, -v95
	v_add_f32_e32 v176, v177, v176
	v_fma_f32 v177, v152, s14, -v217
	v_fmac_f32_e32 v139, 0xbf3f9e67, v86
	v_add_f32_e32 v7, v83, v7
	v_fmac_f32_e32 v89, 0xbeedf032, v1
	v_add_f32_e32 v0, v2, v0
	v_fma_f32 v2, v78, s14, -v126
	v_mov_b32_e32 v235, v234
	v_add_f32_e32 v177, v177, v176
	v_add_f32_e32 v176, v72, v218
	;; [unrolled: 1-line block ×3, first 2 shown]
	v_mul_f32_e32 v139, 0xbe750f2a, v144
	v_add_f32_e32 v7, v84, v7
	v_add_f32_e32 v3, v72, v3
	;; [unrolled: 1-line block ×3, first 2 shown]
	v_fmac_f32_e32 v117, 0xbf52af12, v13
	v_add_f32_e32 v0, v2, v0
	v_fma_f32 v2, v86, s16, -v138
	v_fmac_f32_e32 v235, 0xbeb58ec6, v86
	v_add_f32_e32 v176, v219, v176
	v_fmac_f32_e32 v220, 0x3f116cb1, v14
	v_add_f32_e32 v7, v85, v7
	v_add_f32_e32 v3, v5, v3
	v_fma_f32 v5, v14, s16, -v232
	v_add_f32_e32 v1, v117, v1
	v_fmac_f32_e32 v118, 0xbf7e222b, v77
	v_add_f32_e32 v0, v2, v0
	v_fma_f32 v2, v90, s15, -v139
	v_add_f32_e32 v174, v235, v174
	v_mul_f32_e32 v235, 0x3f7e222b, v144
	v_add_f32_e32 v176, v220, v176
	v_fmac_f32_e32 v221, 0xbf788fa5, v78
	v_mov_b32_e32 v140, v139
	v_add_f32_e32 v7, v23, v7
	v_add_f32_e32 v3, v5, v3
	v_fma_f32 v5, v78, s12, -v233
	v_add_f32_e32 v1, v118, v1
	v_fmac_f32_e32 v125, 0xbf6f5d39, v79
	v_add_f32_e32 v0, v2, v0
	v_mul_u32_u24_e32 v2, 26, v123
	v_mov_b32_e32 v236, v235
	v_add_f32_e32 v176, v221, v176
	v_fmac_f32_e32 v222, 0x3f62ad3f, v86
	v_fmac_f32_e32 v140, 0xbf788fa5, v90
	v_add_f32_e32 v7, v76, v7
	v_add_f32_e32 v3, v5, v3
	v_fma_f32 v5, v86, s14, -v234
	v_add_f32_e32 v1, v125, v1
	v_fmac_f32_e32 v136, 0xbf29c268, v88
	v_or_b32_e32 v2, v2, v121
	v_fmac_f32_e32 v236, 0x3df6dbef, v90
	v_add_f32_e32 v176, v222, v176
	v_fmac_f32_e32 v223, 0xbeb58ec6, v90
	v_add_f32_e32 v93, v140, v93
	v_add_f32_e32 v7, v15, v7
	;; [unrolled: 1-line block ×3, first 2 shown]
	v_fma_f32 v5, v90, s13, -v235
	v_add_f32_e32 v1, v136, v1
	v_fmac_f32_e32 v137, 0xbe750f2a, v92
	v_lshlrev_b32_e32 v2, 3, v2
	v_add_f32_e32 v174, v236, v174
	v_add_f32_e32 v176, v223, v176
	v_add_f32_e32 v3, v5, v3
	v_add_f32_e32 v1, v137, v1
	ds_write2_b64 v2, v[6:7], v[93:94] offset1:2
	ds_write2_b64 v2, v[129:130], v[142:143] offset0:4 offset1:6
	ds_write2_b64 v2, v[170:171], v[176:177] offset0:8 offset1:10
	;; [unrolled: 1-line block ×5, first 2 shown]
	ds_write_b64 v2, v[0:1] offset:192
.LBB0_17:
	s_or_b64 exec, exec, s[4:5]
	v_add_u32_e32 v8, 0x1800, v119
	s_waitcnt lgkmcnt(0)
	s_barrier
	v_add_u32_e32 v0, 0x600, v119
	ds_read2_b64 v[12:15], v8 offset0:12 offset1:129
	v_add_u32_e32 v8, 0xc00, v119
	ds_read2_b64 v[4:7], v119 offset1:117
	ds_read2_b64 v[0:3], v0 offset0:42 offset1:198
	ds_read2_b64 v[8:11], v8 offset0:123 offset1:240
	ds_read_b64 v[22:23], v119 offset:8112
	s_and_saveexec_b64 s[0:1], s[2:3]
	s_cbranch_execz .LBB0_19
; %bb.18:
	ds_read_b64 v[16:17], v119 offset:2808
	ds_read_b64 v[20:21], v119 offset:5928
	;; [unrolled: 1-line block ×3, first 2 shown]
.LBB0_19:
	s_or_b64 exec, exec, s[0:1]
	s_waitcnt lgkmcnt(2)
	v_mul_f32_e32 v72, v29, v3
	v_fmac_f32_e32 v72, v28, v2
	v_mul_f32_e32 v2, v29, v2
	v_fma_f32 v28, v28, v3, -v2
	v_mul_f32_e32 v29, v31, v13
	v_mul_f32_e32 v2, v31, v12
	v_fmac_f32_e32 v29, v30, v12
	v_fma_f32 v13, v30, v13, -v2
	s_waitcnt lgkmcnt(1)
	v_mul_f32_e32 v30, v25, v9
	v_mul_f32_e32 v2, v25, v8
	v_fmac_f32_e32 v30, v24, v8
	v_fma_f32 v24, v24, v9, -v2
	v_mul_f32_e32 v25, v27, v15
	v_mul_f32_e32 v2, v27, v14
	v_fmac_f32_e32 v25, v26, v14
	v_fma_f32 v26, v26, v15, -v2
	v_mul_f32_e32 v2, v33, v10
	v_mul_f32_e32 v27, v33, v11
	v_fma_f32 v31, v32, v11, -v2
	v_add_f32_e32 v11, v72, v29
	v_fmac_f32_e32 v27, v32, v10
	v_add_f32_e32 v10, v4, v72
	v_fma_f32 v4, -0.5, v11, v4
	v_sub_f32_e32 v11, v28, v13
	v_mov_b32_e32 v12, v4
	v_fmac_f32_e32 v12, 0xbf5db3d7, v11
	v_fmac_f32_e32 v4, 0x3f5db3d7, v11
	v_add_f32_e32 v11, v5, v28
	v_add_f32_e32 v11, v11, v13
	;; [unrolled: 1-line block ×3, first 2 shown]
	v_fma_f32 v5, -0.5, v13, v5
	v_mul_f32_e32 v3, v37, v20
	v_sub_f32_e32 v14, v72, v29
	v_mov_b32_e32 v13, v5
	v_add_f32_e32 v15, v30, v25
	s_waitcnt lgkmcnt(0)
	v_mul_f32_e32 v32, v35, v23
	v_fma_f32 v8, v36, v21, -v3
	v_mul_f32_e32 v3, v39, v19
	v_fmac_f32_e32 v13, 0x3f5db3d7, v14
	v_fmac_f32_e32 v5, 0xbf5db3d7, v14
	v_add_f32_e32 v14, v6, v30
	v_fma_f32 v6, -0.5, v15, v6
	v_fmac_f32_e32 v32, v34, v22
	v_mul_f32_e32 v2, v35, v22
	v_fmac_f32_e32 v3, v38, v18
	v_mul_f32_e32 v9, v39, v18
	v_sub_f32_e32 v15, v24, v26
	v_mov_b32_e32 v22, v6
	v_add_f32_e32 v18, v24, v26
	v_fmac_f32_e32 v22, 0xbf5db3d7, v15
	v_fmac_f32_e32 v6, 0x3f5db3d7, v15
	v_add_f32_e32 v15, v7, v24
	v_fmac_f32_e32 v7, -0.5, v18
	v_fma_f32 v33, v34, v23, -v2
	v_sub_f32_e32 v18, v30, v25
	v_mov_b32_e32 v23, v7
	v_fmac_f32_e32 v23, 0x3f5db3d7, v18
	v_fmac_f32_e32 v7, 0xbf5db3d7, v18
	v_add_f32_e32 v18, v0, v27
	v_add_f32_e32 v24, v18, v32
	;; [unrolled: 1-line block ×3, first 2 shown]
	v_fma_f32 v0, -0.5, v18, v0
	v_add_f32_e32 v15, v15, v26
	v_sub_f32_e32 v18, v31, v33
	v_mov_b32_e32 v26, v0
	v_fmac_f32_e32 v26, 0xbf5db3d7, v18
	v_fmac_f32_e32 v0, 0x3f5db3d7, v18
	v_add_f32_e32 v18, v1, v31
	v_add_f32_e32 v14, v14, v25
	;; [unrolled: 1-line block ×4, first 2 shown]
	v_mul_f32_e32 v2, v37, v21
	v_fmac_f32_e32 v1, -0.5, v18
	v_fmac_f32_e32 v2, v36, v20
	v_sub_f32_e32 v18, v27, v32
	v_mov_b32_e32 v27, v1
	v_fmac_f32_e32 v27, 0x3f5db3d7, v18
	v_fmac_f32_e32 v1, 0xbf5db3d7, v18
	v_add_f32_e32 v18, v2, v3
	v_fma_f32 v9, v38, v19, -v9
	v_fma_f32 v18, -0.5, v18, v16
	v_sub_f32_e32 v19, v8, v9
	v_mov_b32_e32 v20, v18
	v_fmac_f32_e32 v20, 0xbf5db3d7, v19
	v_fmac_f32_e32 v18, 0x3f5db3d7, v19
	v_add_f32_e32 v19, v8, v9
	v_fma_f32 v19, -0.5, v19, v17
	v_sub_f32_e32 v28, v2, v3
	v_mov_b32_e32 v21, v19
	v_add_f32_e32 v10, v10, v29
	v_fmac_f32_e32 v21, 0x3f5db3d7, v28
	v_fmac_f32_e32 v19, 0xbf5db3d7, v28
	s_barrier
	ds_write2_b64 v131, v[10:11], v[12:13] offset1:26
	ds_write_b64 v131, v[4:5] offset:416
	ds_write2_b64 v132, v[14:15], v[22:23] offset1:26
	ds_write_b64 v132, v[6:7] offset:416
	;; [unrolled: 2-line block ×3, first 2 shown]
	s_and_saveexec_b64 s[0:1], s[2:3]
	s_cbranch_execz .LBB0_21
; %bb.20:
	v_add_f32_e32 v0, v17, v8
	s_movk_i32 s4, 0x4e
	v_add_f32_e32 v1, v0, v9
	v_add_f32_e32 v0, v16, v2
	v_mad_legacy_u16 v2, v127, s4, v128
	v_add_f32_e32 v0, v0, v3
	v_lshlrev_b32_e32 v2, 3, v2
	ds_write2_b64 v2, v[0:1], v[20:21] offset1:26
	ds_write_b64 v2, v[18:19] offset:416
.LBB0_21:
	s_or_b64 exec, exec, s[0:1]
	v_add_u32_e32 v4, 0x400, v119
	s_waitcnt lgkmcnt(0)
	s_barrier
	ds_read2_b64 v[4:7], v4 offset0:106 offset1:223
	v_add_u32_e32 v24, 0xc00, v119
	v_add_u32_e32 v12, 0x1400, v119
	ds_read2_b64 v[8:11], v24 offset0:84 offset1:201
	ds_read2_b64 v[12:15], v12 offset0:62 offset1:179
	v_add_u32_e32 v16, 0x1c00, v119
	ds_read2_b64 v[25:28], v16 offset0:40 offset1:157
	ds_read2_b64 v[0:3], v119 offset1:117
	s_waitcnt lgkmcnt(4)
	v_mul_f32_e32 v16, v45, v5
	v_fmac_f32_e32 v16, v44, v4
	v_mul_f32_e32 v4, v45, v4
	v_fma_f32 v17, v44, v5, -v4
	s_waitcnt lgkmcnt(3)
	v_mul_f32_e32 v22, v47, v9
	v_mul_f32_e32 v4, v47, v8
	s_waitcnt lgkmcnt(2)
	v_mul_f32_e32 v29, v41, v13
	v_fmac_f32_e32 v22, v46, v8
	v_fma_f32 v23, v46, v9, -v4
	v_fmac_f32_e32 v29, v40, v12
	v_mul_f32_e32 v4, v41, v12
	s_waitcnt lgkmcnt(1)
	v_mul_f32_e32 v9, v43, v26
	v_fma_f32 v12, v40, v13, -v4
	v_fmac_f32_e32 v9, v42, v25
	v_mul_f32_e32 v4, v43, v25
	v_mul_f32_e32 v25, v57, v7
	v_add_f32_e32 v5, v22, v29
	v_fma_f32 v13, v42, v26, -v4
	v_fmac_f32_e32 v25, v56, v6
	v_mul_f32_e32 v4, v57, v6
	s_waitcnt lgkmcnt(0)
	v_fma_f32 v6, -0.5, v5, v0
	v_fma_f32 v26, v56, v7, -v4
	v_mul_f32_e32 v30, v59, v11
	v_mul_f32_e32 v4, v59, v10
	v_sub_f32_e32 v5, v17, v13
	v_mov_b32_e32 v8, v6
	v_fmac_f32_e32 v30, v58, v10
	v_fma_f32 v31, v58, v11, -v4
	v_fmac_f32_e32 v8, 0xbf737871, v5
	v_sub_f32_e32 v7, v23, v12
	v_sub_f32_e32 v10, v16, v22
	;; [unrolled: 1-line block ×3, first 2 shown]
	v_fmac_f32_e32 v6, 0x3f737871, v5
	v_mul_f32_e32 v4, v49, v14
	v_fmac_f32_e32 v8, 0xbf167918, v7
	v_add_f32_e32 v10, v10, v11
	v_fmac_f32_e32 v6, 0x3f167918, v7
	v_mul_f32_e32 v32, v49, v15
	v_fma_f32 v33, v48, v15, -v4
	v_mul_f32_e32 v15, v51, v28
	v_mul_f32_e32 v4, v51, v27
	v_fmac_f32_e32 v8, 0x3e9e377a, v10
	v_fmac_f32_e32 v6, 0x3e9e377a, v10
	v_add_f32_e32 v10, v16, v9
	v_fmac_f32_e32 v15, v50, v27
	v_fma_f32 v27, v50, v28, -v4
	v_add_f32_e32 v4, v0, v16
	v_fma_f32 v0, -0.5, v10, v0
	v_mov_b32_e32 v10, v0
	v_add_f32_e32 v4, v4, v22
	v_fmac_f32_e32 v10, 0x3f737871, v7
	v_fmac_f32_e32 v0, 0xbf737871, v7
	v_add_f32_e32 v7, v23, v12
	v_fmac_f32_e32 v32, v48, v14
	v_add_f32_e32 v4, v4, v29
	v_sub_f32_e32 v11, v22, v16
	v_sub_f32_e32 v14, v29, v9
	v_fma_f32 v7, -0.5, v7, v1
	v_add_f32_e32 v4, v4, v9
	v_fmac_f32_e32 v10, 0xbf167918, v5
	v_add_f32_e32 v11, v11, v14
	v_fmac_f32_e32 v0, 0x3f167918, v5
	v_sub_f32_e32 v14, v16, v9
	v_mov_b32_e32 v9, v7
	v_fmac_f32_e32 v10, 0x3e9e377a, v11
	v_fmac_f32_e32 v0, 0x3e9e377a, v11
	;; [unrolled: 1-line block ×3, first 2 shown]
	v_sub_f32_e32 v16, v22, v29
	v_sub_f32_e32 v11, v17, v23
	v_sub_f32_e32 v22, v13, v12
	v_fmac_f32_e32 v7, 0xbf737871, v14
	v_add_f32_e32 v5, v1, v17
	v_fmac_f32_e32 v9, 0x3f167918, v16
	v_add_f32_e32 v11, v11, v22
	;; [unrolled: 2-line block ×3, first 2 shown]
	v_fmac_f32_e32 v9, 0x3e9e377a, v11
	v_fmac_f32_e32 v7, 0x3e9e377a, v11
	v_add_f32_e32 v11, v17, v13
	v_add_f32_e32 v5, v5, v12
	v_fma_f32 v1, -0.5, v11, v1
	v_add_f32_e32 v5, v5, v13
	v_mov_b32_e32 v11, v1
	v_sub_f32_e32 v12, v12, v13
	v_add_f32_e32 v13, v30, v32
	v_fmac_f32_e32 v11, 0xbf737871, v16
	v_fmac_f32_e32 v1, 0x3f737871, v16
	v_fma_f32 v16, -0.5, v13, v2
	v_fmac_f32_e32 v11, 0x3f167918, v14
	v_sub_f32_e32 v17, v23, v17
	v_fmac_f32_e32 v1, 0xbf167918, v14
	v_sub_f32_e32 v13, v26, v27
	v_mov_b32_e32 v14, v16
	v_add_f32_e32 v12, v17, v12
	v_fmac_f32_e32 v14, 0xbf737871, v13
	v_sub_f32_e32 v17, v31, v33
	v_sub_f32_e32 v22, v25, v30
	;; [unrolled: 1-line block ×3, first 2 shown]
	v_fmac_f32_e32 v16, 0x3f737871, v13
	v_fmac_f32_e32 v14, 0xbf167918, v17
	v_add_f32_e32 v22, v22, v23
	v_fmac_f32_e32 v16, 0x3f167918, v17
	v_fmac_f32_e32 v14, 0x3e9e377a, v22
	;; [unrolled: 1-line block ×3, first 2 shown]
	v_add_f32_e32 v22, v25, v15
	v_fmac_f32_e32 v11, 0x3e9e377a, v12
	v_fmac_f32_e32 v1, 0x3e9e377a, v12
	v_add_f32_e32 v12, v2, v25
	v_fma_f32 v2, -0.5, v22, v2
	v_mov_b32_e32 v22, v2
	v_add_f32_e32 v12, v12, v30
	v_fmac_f32_e32 v22, 0x3f737871, v17
	v_fmac_f32_e32 v2, 0xbf737871, v17
	v_add_f32_e32 v17, v31, v33
	v_add_f32_e32 v12, v12, v32
	v_sub_f32_e32 v23, v30, v25
	v_sub_f32_e32 v28, v32, v15
	v_fma_f32 v17, -0.5, v17, v3
	v_add_f32_e32 v12, v12, v15
	v_fmac_f32_e32 v22, 0xbf167918, v13
	v_add_f32_e32 v23, v23, v28
	v_fmac_f32_e32 v2, 0x3f167918, v13
	v_sub_f32_e32 v25, v25, v15
	v_mov_b32_e32 v15, v17
	v_fmac_f32_e32 v22, 0x3e9e377a, v23
	v_fmac_f32_e32 v2, 0x3e9e377a, v23
	;; [unrolled: 1-line block ×3, first 2 shown]
	v_sub_f32_e32 v28, v30, v32
	v_sub_f32_e32 v23, v26, v31
	v_sub_f32_e32 v29, v27, v33
	v_fmac_f32_e32 v17, 0xbf737871, v25
	v_fmac_f32_e32 v15, 0x3f167918, v28
	v_add_f32_e32 v23, v23, v29
	v_fmac_f32_e32 v17, 0xbf167918, v28
	v_add_f32_e32 v13, v3, v26
	v_fmac_f32_e32 v15, 0x3e9e377a, v23
	v_fmac_f32_e32 v17, 0x3e9e377a, v23
	v_add_f32_e32 v23, v26, v27
	v_add_f32_e32 v13, v13, v31
	v_fmac_f32_e32 v3, -0.5, v23
	v_add_f32_e32 v13, v13, v33
	v_mov_b32_e32 v23, v3
	v_add_f32_e32 v13, v13, v27
	v_fmac_f32_e32 v23, 0xbf737871, v28
	v_sub_f32_e32 v26, v31, v26
	v_sub_f32_e32 v27, v33, v27
	v_fmac_f32_e32 v3, 0x3f737871, v28
	v_fmac_f32_e32 v23, 0x3f167918, v25
	v_add_f32_e32 v26, v26, v27
	v_fmac_f32_e32 v3, 0xbf167918, v25
	v_fmac_f32_e32 v23, 0x3e9e377a, v26
	;; [unrolled: 1-line block ×3, first 2 shown]
	s_barrier
	ds_write2_b64 v134, v[4:5], v[8:9] offset1:78
	ds_write2_b64 v134, v[10:11], v[0:1] offset0:156 offset1:234
	ds_write_b64 v134, v[6:7] offset:2496
	ds_write2_b64 v135, v[12:13], v[14:15] offset1:78
	ds_write2_b64 v135, v[22:23], v[2:3] offset0:156 offset1:234
	ds_write_b64 v135, v[16:17] offset:2496
	v_add_u32_e32 v0, 0x600, v119
	v_add_u32_e32 v8, 0x1800, v119
	s_waitcnt lgkmcnt(0)
	s_barrier
	ds_read2_b64 v[4:7], v119 offset1:117
	ds_read2_b64 v[0:3], v0 offset0:42 offset1:198
	ds_read2_b64 v[12:15], v8 offset0:12 offset1:129
	;; [unrolled: 1-line block ×3, first 2 shown]
	ds_read_b64 v[22:23], v119 offset:8112
	s_and_saveexec_b64 s[0:1], s[2:3]
	s_cbranch_execz .LBB0_23
; %bb.22:
	ds_read_b64 v[16:17], v119 offset:2808
	ds_read_b64 v[20:21], v119 offset:5928
	;; [unrolled: 1-line block ×3, first 2 shown]
.LBB0_23:
	s_or_b64 exec, exec, s[0:1]
	s_waitcnt lgkmcnt(3)
	v_mul_f32_e32 v25, v61, v3
	v_fmac_f32_e32 v25, v60, v2
	v_mul_f32_e32 v2, v61, v2
	v_fma_f32 v26, v60, v3, -v2
	s_waitcnt lgkmcnt(2)
	v_mul_f32_e32 v27, v63, v13
	v_mul_f32_e32 v2, v63, v12
	v_fmac_f32_e32 v27, v62, v12
	v_fma_f32 v12, v62, v13, -v2
	s_waitcnt lgkmcnt(1)
	v_mul_f32_e32 v2, v65, v8
	v_fma_f32 v28, v64, v9, -v2
	v_mul_f32_e32 v29, v67, v15
	v_mul_f32_e32 v2, v67, v14
	v_fmac_f32_e32 v29, v66, v14
	v_fma_f32 v14, v66, v15, -v2
	v_mul_f32_e32 v2, v69, v10
	v_fma_f32 v31, v68, v11, -v2
	s_waitcnt lgkmcnt(0)
	v_mul_f32_e32 v2, v71, v22
	v_add_f32_e32 v3, v25, v27
	v_mul_f32_e32 v13, v65, v9
	v_mul_f32_e32 v32, v71, v23
	v_fma_f32 v23, v70, v23, -v2
	v_add_f32_e32 v2, v4, v25
	v_fma_f32 v4, -0.5, v3, v4
	v_fmac_f32_e32 v13, v64, v8
	v_sub_f32_e32 v3, v26, v12
	v_mov_b32_e32 v8, v4
	v_add_f32_e32 v9, v26, v12
	v_mul_f32_e32 v30, v69, v11
	v_fmac_f32_e32 v8, 0xbf5db3d7, v3
	v_fmac_f32_e32 v4, 0x3f5db3d7, v3
	v_add_f32_e32 v3, v5, v26
	v_fma_f32 v5, -0.5, v9, v5
	v_fmac_f32_e32 v30, v68, v10
	v_sub_f32_e32 v10, v25, v27
	v_mov_b32_e32 v9, v5
	v_add_f32_e32 v11, v13, v29
	v_fmac_f32_e32 v9, 0x3f5db3d7, v10
	v_fmac_f32_e32 v5, 0xbf5db3d7, v10
	v_add_f32_e32 v10, v6, v13
	v_fma_f32 v6, -0.5, v11, v6
	v_add_f32_e32 v3, v3, v12
	v_sub_f32_e32 v11, v28, v14
	v_mov_b32_e32 v12, v6
	v_fmac_f32_e32 v12, 0xbf5db3d7, v11
	v_fmac_f32_e32 v6, 0x3f5db3d7, v11
	v_add_f32_e32 v11, v7, v28
	v_add_f32_e32 v11, v11, v14
	;; [unrolled: 1-line block ×3, first 2 shown]
	v_fmac_f32_e32 v32, v70, v22
	v_fmac_f32_e32 v7, -0.5, v14
	v_sub_f32_e32 v14, v13, v29
	v_mov_b32_e32 v13, v7
	v_add_f32_e32 v15, v30, v32
	v_fmac_f32_e32 v13, 0x3f5db3d7, v14
	v_fmac_f32_e32 v7, 0xbf5db3d7, v14
	v_add_f32_e32 v14, v0, v30
	v_fma_f32 v0, -0.5, v15, v0
	v_sub_f32_e32 v15, v31, v23
	v_mov_b32_e32 v22, v0
	v_fmac_f32_e32 v22, 0xbf5db3d7, v15
	v_fmac_f32_e32 v0, 0x3f5db3d7, v15
	v_add_f32_e32 v15, v1, v31
	v_add_f32_e32 v15, v15, v23
	;; [unrolled: 1-line block ×3, first 2 shown]
	v_fmac_f32_e32 v1, -0.5, v23
	v_sub_f32_e32 v25, v30, v32
	v_mov_b32_e32 v23, v1
	v_add_f32_e32 v2, v2, v27
	v_add_f32_e32 v10, v10, v29
	;; [unrolled: 1-line block ×3, first 2 shown]
	v_fmac_f32_e32 v23, 0x3f5db3d7, v25
	v_fmac_f32_e32 v1, 0xbf5db3d7, v25
	ds_write_b64 v119, v[8:9] offset:3120
	ds_write_b64 v119, v[4:5] offset:6240
	ds_write2_b64 v119, v[2:3], v[10:11] offset1:117
	ds_write_b64 v119, v[6:7] offset:7176
	ds_write_b64 v119, v[14:15] offset:1872
	ds_write2_b64 v24, v[12:13], v[22:23] offset0:123 offset1:240
	ds_write_b64 v119, v[0:1] offset:8112
	s_and_saveexec_b64 s[0:1], s[2:3]
	s_cbranch_execz .LBB0_25
; %bb.24:
	v_mul_f32_e32 v0, v53, v20
	v_fma_f32 v2, v52, v21, -v0
	v_mul_f32_e32 v0, v55, v18
	v_fma_f32 v4, v54, v19, -v0
	v_add_f32_e32 v0, v2, v4
	v_mul_f32_e32 v6, v53, v21
	v_mul_f32_e32 v7, v55, v19
	v_fma_f32 v1, -0.5, v0, v17
	v_fmac_f32_e32 v6, v52, v20
	v_fmac_f32_e32 v7, v54, v18
	v_sub_f32_e32 v0, v6, v7
	v_mov_b32_e32 v3, v1
	v_fmac_f32_e32 v3, 0xbf5db3d7, v0
	v_fmac_f32_e32 v1, 0x3f5db3d7, v0
	v_add_f32_e32 v0, v17, v2
	v_add_f32_e32 v5, v0, v4
	;; [unrolled: 1-line block ×3, first 2 shown]
	v_fma_f32 v0, -0.5, v0, v16
	v_sub_f32_e32 v4, v2, v4
	v_mov_b32_e32 v2, v0
	v_fmac_f32_e32 v2, 0x3f5db3d7, v4
	v_fmac_f32_e32 v0, 0xbf5db3d7, v4
	v_add_f32_e32 v4, v16, v6
	v_add_f32_e32 v4, v4, v7
	ds_write_b64 v119, v[4:5] offset:2808
	ds_write_b64 v119, v[0:1] offset:5928
	;; [unrolled: 1-line block ×3, first 2 shown]
.LBB0_25:
	s_or_b64 exec, exec, s[0:1]
	s_waitcnt lgkmcnt(0)
	s_barrier
	ds_read2_b64 v[0:3], v119 offset1:117
	v_mad_u64_u32 v[8:9], s[0:1], s10, v102, 0
	s_mov_b32 s0, 0x1c01c01c
	s_mov_b32 s1, 0x3f4c01c0
	s_waitcnt lgkmcnt(0)
	v_mul_f32_e32 v4, v116, v1
	v_fmac_f32_e32 v4, v115, v0
	v_cvt_f64_f32_e32 v[4:5], v4
	v_mul_f32_e32 v0, v116, v0
	v_fma_f32 v0, v115, v1, -v0
	v_cvt_f64_f32_e32 v[0:1], v0
	v_mul_f64 v[4:5], v[4:5], s[0:1]
	v_mad_u64_u32 v[10:11], s[2:3], s8, v120, 0
	v_mov_b32_e32 v6, v9
	v_mad_u64_u32 v[6:7], s[2:3], s11, v102, v[6:7]
	v_mul_f64 v[0:1], v[0:1], s[0:1]
	s_mul_hi_u32 s5, s8, 0xfffff160
	v_cvt_f32_f64_e32 v12, v[4:5]
	v_mov_b32_e32 v4, v11
	v_mad_u64_u32 v[14:15], s[2:3], s9, v120, v[4:5]
	v_add_u32_e32 v4, 0xc00, v119
	v_mov_b32_e32 v9, v6
	ds_read2_b64 v[4:7], v4 offset0:84 offset1:201
	v_cvt_f32_f64_e32 v13, v[0:1]
	v_lshlrev_b64 v[0:1], 3, v[8:9]
	v_mov_b32_e32 v11, v14
	v_mov_b32_e32 v14, s7
	s_waitcnt lgkmcnt(0)
	v_mul_f32_e32 v8, v114, v7
	v_fmac_f32_e32 v8, v113, v6
	v_mul_f32_e32 v6, v114, v6
	v_fma_f32 v6, v113, v7, -v6
	v_cvt_f64_f32_e32 v[8:9], v8
	v_cvt_f64_f32_e32 v[6:7], v6
	v_add_co_u32_e32 v15, vcc, s6, v0
	v_addc_co_u32_e32 v14, vcc, v14, v1, vcc
	v_mul_f64 v[0:1], v[8:9], s[0:1]
	v_mul_f64 v[6:7], v[6:7], s[0:1]
	v_lshlrev_b64 v[8:9], 3, v[10:11]
	s_mul_i32 s2, s9, 0x1248
	v_add_co_u32_e32 v8, vcc, v15, v8
	s_mul_hi_u32 s3, s8, 0x1248
	v_addc_co_u32_e32 v9, vcc, v14, v9, vcc
	v_cvt_f32_f64_e32 v0, v[0:1]
	v_cvt_f32_f64_e32 v1, v[6:7]
	v_mul_f32_e32 v6, v112, v3
	v_fmac_f32_e32 v6, v111, v2
	v_mul_f32_e32 v2, v112, v2
	v_fma_f32 v2, v111, v3, -v2
	v_cvt_f64_f32_e32 v[2:3], v2
	v_cvt_f64_f32_e32 v[6:7], v6
	s_add_i32 s2, s3, s2
	s_mul_i32 s3, s8, 0x1248
	v_mul_f64 v[2:3], v[2:3], s[0:1]
	global_store_dwordx2 v[8:9], v[12:13], off
	v_mul_f64 v[6:7], v[6:7], s[0:1]
	v_mov_b32_e32 v10, s2
	v_add_co_u32_e32 v8, vcc, s3, v8
	v_addc_co_u32_e32 v9, vcc, v9, v10, vcc
	global_store_dwordx2 v[8:9], v[0:1], off
	v_add_u32_e32 v0, 0x1400, v119
	v_cvt_f32_f64_e32 v11, v[2:3]
	ds_read2_b64 v[0:3], v0 offset0:62 offset1:179
	v_cvt_f32_f64_e32 v10, v[6:7]
	s_mul_i32 s4, s9, 0xfffff160
	s_sub_i32 s5, s5, s8
	s_add_i32 s4, s5, s4
	s_waitcnt lgkmcnt(0)
	v_mul_f32_e32 v6, v110, v1
	v_fmac_f32_e32 v6, v109, v0
	v_mul_f32_e32 v0, v110, v0
	v_fma_f32 v0, v109, v1, -v0
	v_cvt_f64_f32_e32 v[0:1], v0
	v_cvt_f64_f32_e32 v[6:7], v6
	s_mul_i32 s5, s8, 0xfffff160
	v_mov_b32_e32 v15, s4
	v_mul_f64 v[0:1], v[0:1], s[0:1]
	v_mul_f64 v[12:13], v[6:7], s[0:1]
	v_add_co_u32_e32 v14, vcc, s5, v8
	v_add_u32_e32 v6, 0x400, v119
	v_addc_co_u32_e32 v15, vcc, v9, v15, vcc
	ds_read2_b64 v[6:9], v6 offset0:106 offset1:223
	global_store_dwordx2 v[14:15], v[10:11], off
	v_cvt_f32_f64_e32 v11, v[0:1]
	v_cvt_f32_f64_e32 v10, v[12:13]
	v_mov_b32_e32 v13, s2
	s_waitcnt lgkmcnt(0)
	v_mul_f32_e32 v0, v108, v7
	v_fmac_f32_e32 v0, v107, v6
	v_mul_f32_e32 v6, v108, v6
	v_fma_f32 v6, v107, v7, -v6
	v_cvt_f64_f32_e32 v[0:1], v0
	v_cvt_f64_f32_e32 v[6:7], v6
	v_add_co_u32_e32 v12, vcc, s3, v14
	v_mul_f64 v[0:1], v[0:1], s[0:1]
	v_mul_f64 v[6:7], v[6:7], s[0:1]
	v_addc_co_u32_e32 v13, vcc, v15, v13, vcc
	global_store_dwordx2 v[12:13], v[10:11], off
	v_mul_f32_e32 v10, v106, v3
	v_fmac_f32_e32 v10, v105, v2
	v_mul_f32_e32 v2, v106, v2
	v_fma_f32 v2, v105, v3, -v2
	v_cvt_f64_f32_e32 v[10:11], v10
	v_cvt_f64_f32_e32 v[2:3], v2
	v_cvt_f32_f64_e32 v0, v[0:1]
	v_cvt_f32_f64_e32 v1, v[6:7]
	v_mul_f64 v[6:7], v[10:11], s[0:1]
	v_mul_f64 v[2:3], v[2:3], s[0:1]
	v_mov_b32_e32 v11, s4
	v_add_co_u32_e32 v10, vcc, s5, v12
	v_addc_co_u32_e32 v11, vcc, v13, v11, vcc
	global_store_dwordx2 v[10:11], v[0:1], off
	v_mul_f32_e32 v0, v104, v9
	v_fmac_f32_e32 v0, v103, v8
	v_cvt_f64_f32_e32 v[12:13], v0
	v_mul_f32_e32 v0, v104, v8
	v_fma_f32 v0, v103, v9, -v0
	v_cvt_f64_f32_e32 v[8:9], v0
	v_add_u32_e32 v0, 0x1c00, v119
	v_cvt_f32_f64_e32 v6, v[6:7]
	v_cvt_f32_f64_e32 v7, v[2:3]
	ds_read2_b64 v[0:3], v0 offset0:40 offset1:157
	v_mov_b32_e32 v14, s2
	v_add_co_u32_e32 v10, vcc, s3, v10
	v_addc_co_u32_e32 v11, vcc, v11, v14, vcc
	global_store_dwordx2 v[10:11], v[6:7], off
	v_mul_f64 v[6:7], v[12:13], s[0:1]
	s_waitcnt lgkmcnt(0)
	v_mul_f32_e32 v12, v101, v1
	v_fmac_f32_e32 v12, v100, v0
	v_mul_f32_e32 v0, v101, v0
	v_fma_f32 v0, v100, v1, -v0
	v_mul_f64 v[8:9], v[8:9], s[0:1]
	v_cvt_f64_f32_e32 v[0:1], v0
	v_cvt_f64_f32_e32 v[12:13], v12
	v_cvt_f32_f64_e32 v6, v[6:7]
	v_add_co_u32_e32 v10, vcc, s5, v10
	v_mul_f64 v[0:1], v[0:1], s[0:1]
	v_cvt_f32_f64_e32 v7, v[8:9]
	v_mul_f64 v[8:9], v[12:13], s[0:1]
	v_mov_b32_e32 v12, s4
	v_addc_co_u32_e32 v11, vcc, v11, v12, vcc
	global_store_dwordx2 v[10:11], v[6:7], off
	v_cvt_f32_f64_e32 v7, v[0:1]
	v_mul_f32_e32 v0, v99, v5
	v_fmac_f32_e32 v0, v98, v4
	v_mul_f32_e32 v4, v99, v4
	v_fma_f32 v4, v98, v5, -v4
	v_cvt_f64_f32_e32 v[0:1], v0
	v_cvt_f64_f32_e32 v[4:5], v4
	v_cvt_f32_f64_e32 v6, v[8:9]
	v_mov_b32_e32 v9, s2
	v_add_co_u32_e32 v8, vcc, s3, v10
	v_addc_co_u32_e32 v9, vcc, v11, v9, vcc
	v_mul_f64 v[0:1], v[0:1], s[0:1]
	v_mul_f64 v[4:5], v[4:5], s[0:1]
	global_store_dwordx2 v[8:9], v[6:7], off
	v_mul_f32_e32 v6, v97, v3
	v_fmac_f32_e32 v6, v96, v2
	v_mul_f32_e32 v2, v97, v2
	v_fma_f32 v2, v96, v3, -v2
	v_cvt_f64_f32_e32 v[6:7], v6
	v_cvt_f64_f32_e32 v[2:3], v2
	v_cvt_f32_f64_e32 v0, v[0:1]
	v_cvt_f32_f64_e32 v1, v[4:5]
	v_mul_f64 v[4:5], v[6:7], s[0:1]
	v_mul_f64 v[2:3], v[2:3], s[0:1]
	v_mov_b32_e32 v7, s4
	v_add_co_u32_e32 v6, vcc, s5, v8
	v_addc_co_u32_e32 v7, vcc, v9, v7, vcc
	global_store_dwordx2 v[6:7], v[0:1], off
	v_cvt_f32_f64_e32 v0, v[4:5]
	v_cvt_f32_f64_e32 v1, v[2:3]
	v_mov_b32_e32 v3, s2
	v_add_co_u32_e32 v2, vcc, s3, v6
	v_addc_co_u32_e32 v3, vcc, v7, v3, vcc
	global_store_dwordx2 v[2:3], v[0:1], off
.LBB0_26:
	s_endpgm
	.section	.rodata,"a",@progbits
	.p2align	6, 0x0
	.amdhsa_kernel bluestein_single_fwd_len1170_dim1_sp_op_CI_CI
		.amdhsa_group_segment_fixed_size 9360
		.amdhsa_private_segment_fixed_size 0
		.amdhsa_kernarg_size 104
		.amdhsa_user_sgpr_count 6
		.amdhsa_user_sgpr_private_segment_buffer 1
		.amdhsa_user_sgpr_dispatch_ptr 0
		.amdhsa_user_sgpr_queue_ptr 0
		.amdhsa_user_sgpr_kernarg_segment_ptr 1
		.amdhsa_user_sgpr_dispatch_id 0
		.amdhsa_user_sgpr_flat_scratch_init 0
		.amdhsa_user_sgpr_private_segment_size 0
		.amdhsa_uses_dynamic_stack 0
		.amdhsa_system_sgpr_private_segment_wavefront_offset 0
		.amdhsa_system_sgpr_workgroup_id_x 1
		.amdhsa_system_sgpr_workgroup_id_y 0
		.amdhsa_system_sgpr_workgroup_id_z 0
		.amdhsa_system_sgpr_workgroup_info 0
		.amdhsa_system_vgpr_workitem_id 0
		.amdhsa_next_free_vgpr 237
		.amdhsa_next_free_sgpr 20
		.amdhsa_reserve_vcc 1
		.amdhsa_reserve_flat_scratch 0
		.amdhsa_float_round_mode_32 0
		.amdhsa_float_round_mode_16_64 0
		.amdhsa_float_denorm_mode_32 3
		.amdhsa_float_denorm_mode_16_64 3
		.amdhsa_dx10_clamp 1
		.amdhsa_ieee_mode 1
		.amdhsa_fp16_overflow 0
		.amdhsa_exception_fp_ieee_invalid_op 0
		.amdhsa_exception_fp_denorm_src 0
		.amdhsa_exception_fp_ieee_div_zero 0
		.amdhsa_exception_fp_ieee_overflow 0
		.amdhsa_exception_fp_ieee_underflow 0
		.amdhsa_exception_fp_ieee_inexact 0
		.amdhsa_exception_int_div_zero 0
	.end_amdhsa_kernel
	.text
.Lfunc_end0:
	.size	bluestein_single_fwd_len1170_dim1_sp_op_CI_CI, .Lfunc_end0-bluestein_single_fwd_len1170_dim1_sp_op_CI_CI
                                        ; -- End function
	.section	.AMDGPU.csdata,"",@progbits
; Kernel info:
; codeLenInByte = 14940
; NumSgprs: 24
; NumVgprs: 237
; ScratchSize: 0
; MemoryBound: 0
; FloatMode: 240
; IeeeMode: 1
; LDSByteSize: 9360 bytes/workgroup (compile time only)
; SGPRBlocks: 2
; VGPRBlocks: 59
; NumSGPRsForWavesPerEU: 24
; NumVGPRsForWavesPerEU: 237
; Occupancy: 1
; WaveLimiterHint : 1
; COMPUTE_PGM_RSRC2:SCRATCH_EN: 0
; COMPUTE_PGM_RSRC2:USER_SGPR: 6
; COMPUTE_PGM_RSRC2:TRAP_HANDLER: 0
; COMPUTE_PGM_RSRC2:TGID_X_EN: 1
; COMPUTE_PGM_RSRC2:TGID_Y_EN: 0
; COMPUTE_PGM_RSRC2:TGID_Z_EN: 0
; COMPUTE_PGM_RSRC2:TIDIG_COMP_CNT: 0
	.type	__hip_cuid_6d88fba3577bef49,@object ; @__hip_cuid_6d88fba3577bef49
	.section	.bss,"aw",@nobits
	.globl	__hip_cuid_6d88fba3577bef49
__hip_cuid_6d88fba3577bef49:
	.byte	0                               ; 0x0
	.size	__hip_cuid_6d88fba3577bef49, 1

	.ident	"AMD clang version 19.0.0git (https://github.com/RadeonOpenCompute/llvm-project roc-6.4.0 25133 c7fe45cf4b819c5991fe208aaa96edf142730f1d)"
	.section	".note.GNU-stack","",@progbits
	.addrsig
	.addrsig_sym __hip_cuid_6d88fba3577bef49
	.amdgpu_metadata
---
amdhsa.kernels:
  - .args:
      - .actual_access:  read_only
        .address_space:  global
        .offset:         0
        .size:           8
        .value_kind:     global_buffer
      - .actual_access:  read_only
        .address_space:  global
        .offset:         8
        .size:           8
        .value_kind:     global_buffer
      - .actual_access:  read_only
        .address_space:  global
        .offset:         16
        .size:           8
        .value_kind:     global_buffer
      - .actual_access:  read_only
        .address_space:  global
        .offset:         24
        .size:           8
        .value_kind:     global_buffer
      - .actual_access:  read_only
        .address_space:  global
        .offset:         32
        .size:           8
        .value_kind:     global_buffer
      - .offset:         40
        .size:           8
        .value_kind:     by_value
      - .address_space:  global
        .offset:         48
        .size:           8
        .value_kind:     global_buffer
      - .address_space:  global
        .offset:         56
        .size:           8
        .value_kind:     global_buffer
      - .address_space:  global
        .offset:         64
        .size:           8
        .value_kind:     global_buffer
      - .address_space:  global
        .offset:         72
        .size:           8
        .value_kind:     global_buffer
      - .offset:         80
        .size:           4
        .value_kind:     by_value
      - .address_space:  global
        .offset:         88
        .size:           8
        .value_kind:     global_buffer
      - .address_space:  global
        .offset:         96
        .size:           8
        .value_kind:     global_buffer
    .group_segment_fixed_size: 9360
    .kernarg_segment_align: 8
    .kernarg_segment_size: 104
    .language:       OpenCL C
    .language_version:
      - 2
      - 0
    .max_flat_workgroup_size: 117
    .name:           bluestein_single_fwd_len1170_dim1_sp_op_CI_CI
    .private_segment_fixed_size: 0
    .sgpr_count:     24
    .sgpr_spill_count: 0
    .symbol:         bluestein_single_fwd_len1170_dim1_sp_op_CI_CI.kd
    .uniform_work_group_size: 1
    .uses_dynamic_stack: false
    .vgpr_count:     237
    .vgpr_spill_count: 0
    .wavefront_size: 64
amdhsa.target:   amdgcn-amd-amdhsa--gfx906
amdhsa.version:
  - 1
  - 2
...

	.end_amdgpu_metadata
